;; amdgpu-corpus repo=ROCm/rocFFT kind=compiled arch=gfx1030 opt=O3
	.text
	.amdgcn_target "amdgcn-amd-amdhsa--gfx1030"
	.amdhsa_code_object_version 6
	.protected	bluestein_single_back_len3000_dim1_half_op_CI_CI ; -- Begin function bluestein_single_back_len3000_dim1_half_op_CI_CI
	.globl	bluestein_single_back_len3000_dim1_half_op_CI_CI
	.p2align	8
	.type	bluestein_single_back_len3000_dim1_half_op_CI_CI,@function
bluestein_single_back_len3000_dim1_half_op_CI_CI: ; @bluestein_single_back_len3000_dim1_half_op_CI_CI
; %bb.0:
	s_load_dwordx4 s[16:19], s[4:5], 0x28
	v_mul_u32_u24_e32 v1, 0x290, v0
	v_mov_b32_e32 v49, 0
	s_mov_b32 s0, exec_lo
	v_lshrrev_b32_e32 v1, 16, v1
	v_add_nc_u32_e32 v48, s6, v1
	s_waitcnt lgkmcnt(0)
	v_cmpx_gt_u64_e64 s[16:17], v[48:49]
	s_cbranch_execz .LBB0_2
; %bb.1:
	s_clause 0x1
	s_load_dwordx4 s[8:11], s[4:5], 0x18
	s_load_dwordx4 s[0:3], s[4:5], 0x0
	v_mul_lo_u16 v1, 0x64, v1
	v_mov_b32_e32 v9, 2
	v_sub_nc_u16 v8, v0, v1
	v_and_b32_e32 v112, 0xffff, v8
	v_lshlrev_b32_e32 v116, 2, v112
	s_waitcnt lgkmcnt(0)
	s_load_dwordx4 s[12:15], s[8:9], 0x0
	s_clause 0x1
	global_load_dword v118, v116, s[0:1]
	global_load_dword v102, v116, s[0:1] offset:400
	v_add_co_u32 v71, s6, s0, v116
	v_add_co_ci_u32_e64 v72, null, s1, 0, s6
	s_clause 0x1
	global_load_dword v117, v116, s[0:1] offset:1200
	global_load_dword v100, v116, s[0:1] offset:1600
	v_add_co_u32 v25, vcc_lo, 0x800, v71
	v_add_co_ci_u32_e32 v26, vcc_lo, 0, v72, vcc_lo
	v_add_co_u32 v27, vcc_lo, 0x1000, v71
	v_add_co_ci_u32_e32 v28, vcc_lo, 0, v72, vcc_lo
	v_add_co_u32 v29, vcc_lo, 0x1800, v71
	v_add_co_ci_u32_e32 v30, vcc_lo, 0, v72, vcc_lo
	s_waitcnt lgkmcnt(0)
	v_mad_u64_u32 v[0:1], null, s14, v48, 0
	v_mad_u64_u32 v[2:3], null, s12, v112, 0
	s_mul_i32 s7, s13, 0x4b0
	s_mul_hi_u32 s8, s12, 0x4b0
	s_mul_i32 s6, s12, 0x4b0
	s_add_i32 s7, s8, s7
	s_mul_i32 s8, s13, 0xffffd760
	v_add_nc_u32_e32 v110, 0x400, v116
	v_mad_u64_u32 v[4:5], null, s15, v48, v[1:2]
	s_sub_i32 s8, s8, s12
	v_add_nc_u32_e32 v128, 0xa00, v116
	v_add_nc_u32_e32 v107, 0xe00, v116
	;; [unrolled: 1-line block ×5, first 2 shown]
	v_mad_u64_u32 v[5:6], null, s13, v112, v[3:4]
	v_mov_b32_e32 v1, v4
	v_add_nc_u32_e32 v126, 0x200, v116
	v_add_nc_u32_e32 v101, 0x2000, v116
	;; [unrolled: 1-line block ×4, first 2 shown]
	v_lshlrev_b64 v[0:1], 2, v[0:1]
	v_mov_b32_e32 v3, v5
	v_add_nc_u32_e32 v98, 0x2a00, v116
	v_add_nc_u32_e32 v120, 0x1e00, v116
	;; [unrolled: 1-line block ×4, first 2 shown]
	v_lshlrev_b64 v[2:3], 2, v[2:3]
	v_add_co_u32 v0, vcc_lo, s18, v0
	v_add_co_ci_u32_e32 v1, vcc_lo, s19, v1, vcc_lo
	v_add_nc_u32_e32 v123, 0x1200, v116
	v_add_co_u32 v0, vcc_lo, v0, v2
	v_add_co_ci_u32_e32 v1, vcc_lo, v1, v3, vcc_lo
	v_add_nc_u32_e32 v119, 0x2400, v116
	v_add_co_u32 v2, vcc_lo, v0, s6
	v_add_co_ci_u32_e32 v3, vcc_lo, s7, v1, vcc_lo
	s_clause 0x1
	global_load_dword v10, v[0:1], off
	global_load_dword v7, v[2:3], off
	v_add_co_u32 v0, vcc_lo, v2, s6
	v_add_co_ci_u32_e32 v1, vcc_lo, s7, v3, vcc_lo
	v_add_co_u32 v2, vcc_lo, v0, s6
	v_add_co_ci_u32_e32 v3, vcc_lo, s7, v1, vcc_lo
	;; [unrolled: 2-line block ×3, first 2 shown]
	global_load_dword v6, v[0:1], off
	global_load_dword v115, v[25:26], off offset:352
	global_load_dword v4, v[2:3], off
	v_add_co_u32 v0, vcc_lo, v2, s6
	v_add_co_ci_u32_e32 v1, vcc_lo, s7, v3, vcc_lo
	global_load_dword v113, v[25:26], off offset:1552
	v_add_co_u32 v11, vcc_lo, v0, s6
	v_add_co_ci_u32_e32 v12, vcc_lo, s7, v1, vcc_lo
	global_load_dword v111, v[27:28], off offset:704
	global_load_dword v5, v[0:1], off
	s_clause 0x1
	global_load_dword v109, v[27:28], off offset:1904
	global_load_dword v108, v[29:30], off offset:1056
	global_load_dword v3, v[11:12], off
	v_add_co_u32 v0, vcc_lo, v11, s6
	v_add_co_ci_u32_e32 v1, vcc_lo, s7, v12, vcc_lo
	global_load_dword v106, v[31:32], off offset:208
	v_add_co_u32 v11, vcc_lo, v0, s6
	v_add_co_ci_u32_e32 v12, vcc_lo, s7, v1, vcc_lo
	global_load_dword v2, v[0:1], off
	v_add_co_u32 v13, vcc_lo, v11, s6
	v_add_co_ci_u32_e32 v14, vcc_lo, s7, v12, vcc_lo
	global_load_dword v0, v[11:12], off
	;; [unrolled: 3-line block ×3, first 2 shown]
	global_load_dword v105, v[31:32], off offset:1408
	v_add_co_u32 v53, vcc_lo, 0x2800, v71
	v_mad_u64_u32 v[13:14], null, 0xffffd760, s12, v[11:12]
	v_add_co_ci_u32_e32 v54, vcc_lo, 0, v72, vcc_lo
	s_clause 0x1
	global_load_dword v103, v[53:54], off offset:560
	global_load_dword v99, v[25:26], off offset:752
	global_load_dword v11, v[11:12], off
	v_add_nc_u32_e32 v14, s8, v14
	v_add_co_u32 v16, vcc_lo, v13, s6
	s_clause 0x3
	global_load_dword v97, v[25:26], off offset:1952
	global_load_dword v96, v[27:28], off offset:1104
	;; [unrolled: 1-line block ×4, first 2 shown]
	v_add_co_ci_u32_e32 v17, vcc_lo, s7, v14, vcc_lo
	v_add_co_u32 v12, vcc_lo, v16, s6
	global_load_dword v15, v[13:14], off
	v_add_co_ci_u32_e32 v13, vcc_lo, s7, v17, vcc_lo
	global_load_dword v14, v[16:17], off
	v_add_co_u32 v16, vcc_lo, v12, s6
	v_add_co_ci_u32_e32 v17, vcc_lo, s7, v13, vcc_lo
	global_load_dword v13, v[12:13], off
	v_add_co_u32 v18, vcc_lo, v16, s6
	;; [unrolled: 3-line block ×6, first 2 shown]
	v_add_co_ci_u32_e32 v21, vcc_lo, s7, v34, vcc_lo
	global_load_dword v93, v[31:32], off offset:608
	global_load_dword v19, v[33:34], off
	v_add_co_u32 v22, vcc_lo, v20, s6
	v_add_co_ci_u32_e32 v23, vcc_lo, s7, v21, vcc_lo
	global_load_dword v20, v[20:21], off
	global_load_dword v92, v[31:32], off offset:1808
	v_mad_u64_u32 v[33:34], null, 0xffffd760, s12, v[22:23]
	v_add_nc_u32_e32 v34, s8, v34
	global_load_dword v21, v[22:23], off
	s_clause 0x1
	global_load_dword v89, v116, s[0:1] offset:2000
	global_load_dword v91, v[53:54], off offset:960
	global_load_dword v22, v[33:34], off
	v_add_co_u32 v23, vcc_lo, v33, s6
	v_add_co_ci_u32_e32 v24, vcc_lo, s7, v34, vcc_lo
	global_load_dword v90, v116, s[0:1] offset:800
	v_add_co_u32 v33, vcc_lo, v23, s6
	v_add_co_ci_u32_e32 v34, vcc_lo, s7, v24, vcc_lo
	global_load_dword v23, v[23:24], off
	v_add_co_u32 v35, vcc_lo, v33, s6
	v_add_co_ci_u32_e32 v36, vcc_lo, s7, v34, vcc_lo
	global_load_dword v24, v[33:34], off
	s_clause 0x1
	global_load_dword v88, v[25:26], off offset:1152
	global_load_dword v86, v[27:28], off offset:1504
	global_load_dword v25, v[35:36], off
	v_add_co_u32 v33, vcc_lo, v35, s6
	v_add_co_ci_u32_e32 v34, vcc_lo, s7, v36, vcc_lo
	global_load_dword v87, v[27:28], off offset:304
	v_add_co_u32 v35, vcc_lo, v33, s6
	v_add_co_ci_u32_e32 v36, vcc_lo, s7, v34, vcc_lo
	global_load_dword v26, v[33:34], off
	s_clause 0x1
	global_load_dword v84, v[29:30], off offset:1856
	global_load_dword v85, v[29:30], off offset:656
	global_load_dword v27, v[35:36], off
	v_add_co_u32 v28, vcc_lo, v35, s6
	v_add_co_ci_u32_e32 v29, vcc_lo, s7, v36, vcc_lo
	global_load_dword v83, v[31:32], off offset:1008
	v_add_co_u32 v30, vcc_lo, v28, s6
	v_add_co_ci_u32_e32 v31, vcc_lo, s7, v29, vcc_lo
	global_load_dword v28, v[28:29], off
	v_add_co_u32 v32, vcc_lo, v30, s6
	v_add_co_ci_u32_e32 v33, vcc_lo, s7, v31, vcc_lo
	global_load_dword v29, v[30:31], off
	;; [unrolled: 3-line block ×3, first 2 shown]
	global_load_dword v31, v[34:35], off
	s_clause 0x1
	global_load_dword v81, v[53:54], off offset:1360
	global_load_dword v82, v[53:54], off offset:160
	s_load_dwordx4 s[8:11], s[10:11], 0x0
	v_mul_lo_u16 v32, v8, 10
	v_lshlrev_b32_sdwa v131, v9, v32 dst_sel:DWORD dst_unused:UNUSED_PAD src0_sel:DWORD src1_sel:WORD_0
	s_waitcnt vmcnt(55)
	v_lshrrev_b32_e32 v33, 16, v10
	v_mul_f16_sdwa v34, v118, v10 dst_sel:DWORD dst_unused:UNUSED_PAD src0_sel:WORD_1 src1_sel:DWORD
	s_waitcnt vmcnt(54)
	v_lshrrev_b32_e32 v36, 16, v7
	v_mul_f16_sdwa v37, v117, v7 dst_sel:DWORD dst_unused:UNUSED_PAD src0_sel:WORD_1 src1_sel:DWORD
	v_mul_f16_sdwa v35, v118, v33 dst_sel:DWORD dst_unused:UNUSED_PAD src0_sel:WORD_1 src1_sel:DWORD
	v_fma_f16 v33, v118, v33, -v34
	v_fmac_f16_e32 v35, v118, v10
	v_mul_f16_sdwa v10, v117, v36 dst_sel:DWORD dst_unused:UNUSED_PAD src0_sel:WORD_1 src1_sel:DWORD
	v_fma_f16 v36, v117, v36, -v37
	s_waitcnt vmcnt(53)
	v_lshrrev_b32_e32 v34, 16, v6
	s_waitcnt vmcnt(52)
	v_mul_f16_sdwa v37, v115, v6 dst_sel:DWORD dst_unused:UNUSED_PAD src0_sel:WORD_1 src1_sel:DWORD
	v_pack_b32_f16 v33, v35, v33
	v_fmac_f16_e32 v10, v117, v7
	s_waitcnt vmcnt(51)
	v_lshrrev_b32_e32 v35, 16, v4
	v_mul_f16_sdwa v7, v115, v34 dst_sel:DWORD dst_unused:UNUSED_PAD src0_sel:WORD_1 src1_sel:DWORD
	v_fma_f16 v34, v115, v34, -v37
	s_waitcnt vmcnt(50)
	v_mul_f16_sdwa v38, v113, v4 dst_sel:DWORD dst_unused:UNUSED_PAD src0_sel:WORD_1 src1_sel:DWORD
	v_pack_b32_f16 v10, v10, v36
	s_waitcnt vmcnt(48)
	v_lshrrev_b32_e32 v36, 16, v5
	v_fmac_f16_e32 v7, v115, v6
	v_mul_f16_sdwa v6, v113, v35 dst_sel:DWORD dst_unused:UNUSED_PAD src0_sel:WORD_1 src1_sel:DWORD
	v_mul_f16_sdwa v37, v111, v5 dst_sel:DWORD dst_unused:UNUSED_PAD src0_sel:WORD_1 src1_sel:DWORD
	ds_write_b32 v116, v10 offset:1200
	v_fma_f16 v35, v113, v35, -v38
	v_pack_b32_f16 v7, v7, v34
	v_fmac_f16_e32 v6, v113, v4
	v_mul_f16_sdwa v4, v111, v36 dst_sel:DWORD dst_unused:UNUSED_PAD src0_sel:WORD_1 src1_sel:DWORD
	v_fma_f16 v10, v111, v36, -v37
	s_waitcnt vmcnt(45)
	v_lshrrev_b32_e32 v34, 16, v3
	v_mul_f16_sdwa v36, v109, v3 dst_sel:DWORD dst_unused:UNUSED_PAD src0_sel:WORD_1 src1_sel:DWORD
	ds_write_b32 v116, v7 offset:2400
	v_fmac_f16_e32 v4, v111, v5
	v_pack_b32_f16 v6, v6, v35
	v_mul_f16_sdwa v5, v109, v34 dst_sel:DWORD dst_unused:UNUSED_PAD src0_sel:WORD_1 src1_sel:DWORD
	v_fma_f16 v7, v109, v34, -v36
	s_waitcnt vmcnt(43)
	v_lshrrev_b32_e32 v34, 16, v2
	v_mul_f16_sdwa v35, v108, v2 dst_sel:DWORD dst_unused:UNUSED_PAD src0_sel:WORD_1 src1_sel:DWORD
	v_pack_b32_f16 v4, v4, v10
	v_fmac_f16_e32 v5, v109, v3
	ds_write_b32 v116, v6 offset:3600
	v_mul_f16_sdwa v3, v108, v34 dst_sel:DWORD dst_unused:UNUSED_PAD src0_sel:WORD_1 src1_sel:DWORD
	v_fma_f16 v6, v108, v34, -v35
	s_waitcnt vmcnt(42)
	v_lshrrev_b32_e32 v10, 16, v0
	v_mul_f16_sdwa v34, v106, v0 dst_sel:DWORD dst_unused:UNUSED_PAD src0_sel:WORD_1 src1_sel:DWORD
	ds_write_b32 v116, v4 offset:4800
	v_pack_b32_f16 v4, v5, v7
	v_fmac_f16_e32 v3, v108, v2
	s_waitcnt vmcnt(41)
	v_lshrrev_b32_e32 v5, 16, v1
	v_mul_f16_sdwa v2, v106, v10 dst_sel:DWORD dst_unused:UNUSED_PAD src0_sel:WORD_1 src1_sel:DWORD
	v_fma_f16 v7, v106, v10, -v34
	s_waitcnt vmcnt(40)
	v_mul_f16_sdwa v10, v105, v1 dst_sel:DWORD dst_unused:UNUSED_PAD src0_sel:WORD_1 src1_sel:DWORD
	ds_write_b32 v116, v4 offset:6000
	v_pack_b32_f16 v3, v3, v6
	v_mul_f16_sdwa v4, v105, v5 dst_sel:DWORD dst_unused:UNUSED_PAD src0_sel:WORD_1 src1_sel:DWORD
	s_waitcnt vmcnt(37)
	v_lshrrev_b32_e32 v6, 16, v11
	v_fmac_f16_e32 v2, v106, v0
	v_fma_f16 v0, v105, v5, -v10
	v_mul_f16_sdwa v5, v103, v11 dst_sel:DWORD dst_unused:UNUSED_PAD src0_sel:WORD_1 src1_sel:DWORD
	v_fmac_f16_e32 v4, v105, v1
	v_mul_f16_sdwa v1, v103, v6 dst_sel:DWORD dst_unused:UNUSED_PAD src0_sel:WORD_1 src1_sel:DWORD
	ds_write_b32 v116, v3 offset:7200
	v_pack_b32_f16 v2, v2, v7
	v_fma_f16 v3, v103, v6, -v5
	v_pack_b32_f16 v0, v4, v0
	v_fmac_f16_e32 v1, v103, v11
	s_waitcnt vmcnt(32)
	v_lshrrev_b32_e32 v4, 16, v15
	ds_write_b32 v116, v2 offset:8400
	v_mul_f16_sdwa v2, v102, v15 dst_sel:DWORD dst_unused:UNUSED_PAD src0_sel:WORD_1 src1_sel:DWORD
	ds_write_b32 v116, v0 offset:9600
	v_pack_b32_f16 v0, v1, v3
	v_mul_f16_sdwa v1, v102, v4 dst_sel:DWORD dst_unused:UNUSED_PAD src0_sel:WORD_1 src1_sel:DWORD
	s_waitcnt vmcnt(31)
	v_lshrrev_b32_e32 v3, 16, v14
	v_fma_f16 v2, v102, v4, -v2
	v_mul_f16_sdwa v4, v100, v14 dst_sel:DWORD dst_unused:UNUSED_PAD src0_sel:WORD_1 src1_sel:DWORD
	ds_write_b32 v116, v0 offset:10800
	v_fmac_f16_e32 v1, v102, v15
	v_mul_f16_sdwa v0, v100, v3 dst_sel:DWORD dst_unused:UNUSED_PAD src0_sel:WORD_1 src1_sel:DWORD
	s_waitcnt vmcnt(30)
	v_lshrrev_b32_e32 v5, 16, v13
	v_mul_f16_sdwa v6, v99, v13 dst_sel:DWORD dst_unused:UNUSED_PAD src0_sel:WORD_1 src1_sel:DWORD
	v_fma_f16 v3, v100, v3, -v4
	v_pack_b32_f16 v1, v1, v2
	v_fmac_f16_e32 v0, v100, v14
	v_mul_f16_sdwa v2, v99, v5 dst_sel:DWORD dst_unused:UNUSED_PAD src0_sel:WORD_1 src1_sel:DWORD
	v_fma_f16 v4, v99, v5, -v6
	s_waitcnt vmcnt(29)
	v_lshrrev_b32_e32 v5, 16, v12
	v_mul_f16_sdwa v6, v97, v12 dst_sel:DWORD dst_unused:UNUSED_PAD src0_sel:WORD_1 src1_sel:DWORD
	ds_write2_b32 v116, v33, v1 offset1:100
	v_pack_b32_f16 v0, v0, v3
	v_fmac_f16_e32 v2, v99, v13
	v_mul_f16_sdwa v1, v97, v5 dst_sel:DWORD dst_unused:UNUSED_PAD src0_sel:WORD_1 src1_sel:DWORD
	s_waitcnt vmcnt(28)
	v_lshrrev_b32_e32 v3, 16, v17
	v_fma_f16 v5, v97, v5, -v6
	v_mul_f16_sdwa v6, v96, v17 dst_sel:DWORD dst_unused:UNUSED_PAD src0_sel:WORD_1 src1_sel:DWORD
	v_pack_b32_f16 v2, v2, v4
	v_fmac_f16_e32 v1, v97, v12
	v_mul_f16_sdwa v4, v96, v3 dst_sel:DWORD dst_unused:UNUSED_PAD src0_sel:WORD_1 src1_sel:DWORD
	s_waitcnt vmcnt(27)
	v_lshrrev_b32_e32 v7, 16, v16
	v_fma_f16 v3, v96, v3, -v6
	v_mul_f16_sdwa v6, v95, v16 dst_sel:DWORD dst_unused:UNUSED_PAD src0_sel:WORD_1 src1_sel:DWORD
	;; [unrolled: 7-line block ×3, first 2 shown]
	v_pack_b32_f16 v3, v4, v3
	v_fmac_f16_e32 v5, v95, v16
	v_mul_f16_sdwa v4, v94, v10 dst_sel:DWORD dst_unused:UNUSED_PAD src0_sel:WORD_1 src1_sel:DWORD
	s_waitcnt vmcnt(24)
	v_lshrrev_b32_e32 v11, 16, v19
	v_mul_f16_sdwa v12, v93, v19 dst_sel:DWORD dst_unused:UNUSED_PAD src0_sel:WORD_1 src1_sel:DWORD
	v_fma_f16 v7, v94, v10, -v7
	v_pack_b32_f16 v5, v5, v6
	v_fmac_f16_e32 v4, v94, v18
	v_mul_f16_sdwa v6, v93, v11 dst_sel:DWORD dst_unused:UNUSED_PAD src0_sel:WORD_1 src1_sel:DWORD
	v_fma_f16 v10, v93, v11, -v12
	s_waitcnt vmcnt(23)
	v_lshrrev_b32_e32 v11, 16, v20
	s_waitcnt vmcnt(22)
	v_mul_f16_sdwa v12, v92, v20 dst_sel:DWORD dst_unused:UNUSED_PAD src0_sel:WORD_1 src1_sel:DWORD
	v_pack_b32_f16 v4, v4, v7
	s_waitcnt vmcnt(21)
	v_lshrrev_b32_e32 v7, 16, v21
	v_fmac_f16_e32 v6, v93, v19
	v_mul_f16_sdwa v13, v92, v11 dst_sel:DWORD dst_unused:UNUSED_PAD src0_sel:WORD_1 src1_sel:DWORD
	v_fma_f16 v11, v92, v11, -v12
	s_waitcnt vmcnt(19)
	v_mul_f16_sdwa v12, v91, v21 dst_sel:DWORD dst_unused:UNUSED_PAD src0_sel:WORD_1 src1_sel:DWORD
	v_mul_f16_sdwa v14, v91, v7 dst_sel:DWORD dst_unused:UNUSED_PAD src0_sel:WORD_1 src1_sel:DWORD
	v_pack_b32_f16 v6, v6, v10
	v_fmac_f16_e32 v13, v92, v20
	s_waitcnt vmcnt(18)
	v_lshrrev_b32_e32 v10, 16, v22
	v_fma_f16 v7, v91, v7, -v12
	v_fmac_f16_e32 v14, v91, v21
	s_waitcnt vmcnt(17)
	v_mul_f16_sdwa v12, v90, v22 dst_sel:DWORD dst_unused:UNUSED_PAD src0_sel:WORD_1 src1_sel:DWORD
	v_pack_b32_f16 v11, v13, v11
	v_mul_f16_sdwa v13, v90, v10 dst_sel:DWORD dst_unused:UNUSED_PAD src0_sel:WORD_1 src1_sel:DWORD
	s_waitcnt vmcnt(16)
	v_lshrrev_b32_e32 v15, 16, v23
	v_pack_b32_f16 v7, v14, v7
	v_fma_f16 v10, v90, v10, -v12
	v_mul_f16_sdwa v12, v89, v23 dst_sel:DWORD dst_unused:UNUSED_PAD src0_sel:WORD_1 src1_sel:DWORD
	v_fmac_f16_e32 v13, v90, v22
	v_mul_f16_sdwa v14, v89, v15 dst_sel:DWORD dst_unused:UNUSED_PAD src0_sel:WORD_1 src1_sel:DWORD
	s_waitcnt vmcnt(15)
	v_lshrrev_b32_e32 v16, 16, v24
	s_waitcnt vmcnt(14)
	v_mul_f16_sdwa v17, v88, v24 dst_sel:DWORD dst_unused:UNUSED_PAD src0_sel:WORD_1 src1_sel:DWORD
	v_fma_f16 v12, v89, v15, -v12
	v_pack_b32_f16 v10, v13, v10
	v_fmac_f16_e32 v14, v89, v23
	v_mul_f16_sdwa v13, v88, v16 dst_sel:DWORD dst_unused:UNUSED_PAD src0_sel:WORD_1 src1_sel:DWORD
	v_fma_f16 v15, v88, v16, -v17
	s_waitcnt vmcnt(12)
	v_lshrrev_b32_e32 v16, 16, v25
	s_waitcnt vmcnt(11)
	v_mul_f16_sdwa v17, v87, v25 dst_sel:DWORD dst_unused:UNUSED_PAD src0_sel:WORD_1 src1_sel:DWORD
	ds_write_b32 v116, v10 offset:800
	v_pack_b32_f16 v10, v14, v12
	v_fmac_f16_e32 v13, v88, v24
	v_mul_f16_sdwa v12, v87, v16 dst_sel:DWORD dst_unused:UNUSED_PAD src0_sel:WORD_1 src1_sel:DWORD
	v_fma_f16 v14, v87, v16, -v17
	s_waitcnt vmcnt(10)
	v_lshrrev_b32_e32 v16, 16, v26
	v_mul_f16_sdwa v17, v86, v26 dst_sel:DWORD dst_unused:UNUSED_PAD src0_sel:WORD_1 src1_sel:DWORD
	ds_write2_b32 v110, v0, v10 offset0:144 offset1:244
	v_pack_b32_f16 v0, v13, v15
	v_fmac_f16_e32 v12, v87, v25
	v_mul_f16_sdwa v10, v86, v16 dst_sel:DWORD dst_unused:UNUSED_PAD src0_sel:WORD_1 src1_sel:DWORD
	v_fma_f16 v13, v86, v16, -v17
	s_waitcnt vmcnt(7)
	v_lshrrev_b32_e32 v15, 16, v27
	v_mul_f16_sdwa v16, v85, v27 dst_sel:DWORD dst_unused:UNUSED_PAD src0_sel:WORD_1 src1_sel:DWORD
	ds_write2_b32 v128, v2, v0 offset0:60 offset1:160
	;; [unrolled: 8-line block ×3, first 2 shown]
	v_pack_b32_f16 v0, v10, v13
	s_waitcnt vmcnt(4)
	v_lshrrev_b32_e32 v13, 16, v29
	v_mul_f16_sdwa v1, v84, v14 dst_sel:DWORD dst_unused:UNUSED_PAD src0_sel:WORD_1 src1_sel:DWORD
	v_fma_f16 v10, v84, v14, -v15
	v_mul_f16_sdwa v14, v83, v29 dst_sel:DWORD dst_unused:UNUSED_PAD src0_sel:WORD_1 src1_sel:DWORD
	ds_write2_b32 v122, v3, v0 offset0:20 offset1:120
	s_waitcnt vmcnt(3)
	v_lshrrev_b32_e32 v0, 16, v30
	s_waitcnt vmcnt(2)
	v_lshrrev_b32_e32 v15, 16, v31
	v_mul_f16_sdwa v3, v83, v13 dst_sel:DWORD dst_unused:UNUSED_PAD src0_sel:WORD_1 src1_sel:DWORD
	v_fma_f16 v13, v83, v13, -v14
	s_waitcnt vmcnt(0)
	v_mul_f16_sdwa v14, v82, v30 dst_sel:DWORD dst_unused:UNUSED_PAD src0_sel:WORD_1 src1_sel:DWORD
	v_mul_f16_sdwa v16, v82, v0 dst_sel:DWORD dst_unused:UNUSED_PAD src0_sel:WORD_1 src1_sel:DWORD
	;; [unrolled: 1-line block ×4, first 2 shown]
	v_fmac_f16_e32 v2, v85, v27
	v_fmac_f16_e32 v1, v84, v28
	;; [unrolled: 1-line block ×3, first 2 shown]
	v_fma_f16 v0, v82, v0, -v14
	v_fmac_f16_e32 v16, v82, v30
	v_fma_f16 v14, v81, v15, -v17
	v_fmac_f16_e32 v18, v81, v31
	v_pack_b32_f16 v2, v2, v12
	v_pack_b32_f16 v1, v1, v10
	;; [unrolled: 1-line block ×5, first 2 shown]
	ds_write2_b32 v104, v5, v2 offset0:64 offset1:164
	ds_write2_b32 v121, v4, v1 offset0:108 offset1:208
	;; [unrolled: 1-line block ×5, first 2 shown]
	s_waitcnt lgkmcnt(0)
	s_barrier
	buffer_gl0_inv
	ds_read2_b32 v[6:7], v116 offset1:100
	ds_read2_b32 v[0:1], v126 offset0:72 offset1:172
	ds_read2_b32 v[11:12], v124 offset0:32 offset1:132
	;; [unrolled: 1-line block ×14, first 2 shown]
	s_waitcnt lgkmcnt(0)
	s_barrier
	buffer_gl0_inv
	v_sub_f16_sdwa v46, v19, v21 dst_sel:DWORD dst_unused:UNUSED_PAD src0_sel:WORD_1 src1_sel:WORD_1
	v_lshrrev_b32_e32 v10, 16, v6
	v_lshrrev_b32_e32 v33, 16, v1
	v_sub_f16_sdwa v47, v25, v23 dst_sel:DWORD dst_unused:UNUSED_PAD src0_sel:WORD_1 src1_sel:WORD_1
	v_sub_f16_e32 v37, v12, v14
	v_add_f16_e32 v34, v14, v16
	v_sub_f16_sdwa v35, v12, v18 dst_sel:DWORD dst_unused:UNUSED_PAD src0_sel:WORD_1 src1_sel:WORD_1
	v_add_f16_sdwa v38, v14, v16 dst_sel:DWORD dst_unused:UNUSED_PAD src0_sel:WORD_1 src1_sel:WORD_1
	v_sub_f16_e32 v39, v18, v16
	v_sub_f16_sdwa v42, v12, v14 dst_sel:DWORD dst_unused:UNUSED_PAD src0_sel:WORD_1 src1_sel:WORD_1
	v_sub_f16_sdwa v43, v18, v16 dst_sel:DWORD dst_unused:UNUSED_PAD src0_sel:WORD_1 src1_sel:WORD_1
	v_add_f16_sdwa v51, v21, v23 dst_sel:DWORD dst_unused:UNUSED_PAD src0_sel:WORD_1 src1_sel:WORD_1
	v_add_f16_sdwa v61, v19, v25 dst_sel:DWORD dst_unused:UNUSED_PAD src0_sel:WORD_1 src1_sel:WORD_1
	v_add_f16_sdwa v66, v12, v18 dst_sel:DWORD dst_unused:UNUSED_PAD src0_sel:WORD_1 src1_sel:WORD_1
	v_add_f16_e32 v70, v12, v18
	v_fma_f16 v34, -0.5, v34, v1
	v_sub_f16_sdwa v36, v14, v16 dst_sel:DWORD dst_unused:UNUSED_PAD src0_sel:WORD_1 src1_sel:WORD_1
	v_sub_f16_e32 v40, v12, v18
	v_sub_f16_e32 v41, v14, v16
	;; [unrolled: 1-line block ×4, first 2 shown]
	v_add_f16_e32 v49, v6, v19
	v_add_f16_e32 v50, v21, v23
	;; [unrolled: 1-line block ×3, first 2 shown]
	v_sub_f16_sdwa v55, v19, v25 dst_sel:DWORD dst_unused:UNUSED_PAD src0_sel:WORD_1 src1_sel:WORD_1
	v_sub_f16_e32 v57, v19, v25
	v_sub_f16_e32 v59, v21, v19
	v_sub_f16_sdwa v62, v21, v19 dst_sel:DWORD dst_unused:UNUSED_PAD src0_sel:WORD_1 src1_sel:WORD_1
	v_sub_f16_sdwa v63, v23, v25 dst_sel:DWORD dst_unused:UNUSED_PAD src0_sel:WORD_1 src1_sel:WORD_1
	v_sub_f16_e32 v64, v14, v12
	v_sub_f16_e32 v65, v16, v18
	v_sub_f16_sdwa v67, v14, v12 dst_sel:DWORD dst_unused:UNUSED_PAD src0_sel:WORD_1 src1_sel:WORD_1
	v_add_f16_e32 v69, v19, v25
	v_fma_f16 v38, -0.5, v38, v33
	v_add_f16_e32 v37, v37, v39
	v_add_f16_e32 v39, v42, v43
	;; [unrolled: 1-line block ×3, first 2 shown]
	v_fma_f16 v46, -0.5, v51, v10
	v_add_f16_sdwa v19, v10, v19 dst_sel:DWORD dst_unused:UNUSED_PAD src0_sel:DWORD src1_sel:WORD_1
	v_add_f16_sdwa v12, v33, v12 dst_sel:DWORD dst_unused:UNUSED_PAD src0_sel:DWORD src1_sel:WORD_1
	v_fmac_f16_e32 v10, -0.5, v61
	v_fmac_f16_e32 v33, -0.5, v66
	v_fma_f16 v1, -0.5, v70, v1
	v_fmamk_f16 v61, v35, 0x3b9c, v34
	v_sub_f16_e32 v60, v23, v25
	v_sub_f16_sdwa v68, v16, v18 dst_sel:DWORD dst_unused:UNUSED_PAD src0_sel:WORD_1 src1_sel:WORD_1
	v_lshrrev_b32_e32 v73, 16, v7
	v_add_f16_e32 v42, v44, v45
	v_add_f16_e32 v44, v49, v21
	v_fma_f16 v45, -0.5, v50, v6
	v_add_f16_e32 v47, v52, v14
	v_add_f16_e32 v50, v62, v63
	;; [unrolled: 1-line block ×3, first 2 shown]
	v_fmamk_f16 v62, v40, 0xbb9c, v38
	v_add_f16_sdwa v19, v19, v21 dst_sel:DWORD dst_unused:UNUSED_PAD src0_sel:DWORD src1_sel:WORD_1
	v_add_f16_sdwa v12, v12, v14 dst_sel:DWORD dst_unused:UNUSED_PAD src0_sel:DWORD src1_sel:WORD_1
	v_fmamk_f16 v65, v36, 0xbb9c, v1
	v_fmac_f16_e32 v1, 0x3b9c, v36
	v_fmamk_f16 v66, v41, 0x3b9c, v33
	v_fmac_f16_e32 v33, 0xbb9c, v41
	v_fmac_f16_e32 v34, 0xbb9c, v35
	;; [unrolled: 1-line block ×4, first 2 shown]
	v_sub_f16_sdwa v56, v21, v23 dst_sel:DWORD dst_unused:UNUSED_PAD src0_sel:WORD_1 src1_sel:WORD_1
	v_sub_f16_e32 v58, v21, v23
	v_add_f16_e32 v74, v7, v20
	v_add_f16_e32 v49, v59, v60
	;; [unrolled: 1-line block ×3, first 2 shown]
	v_fma_f16 v6, -0.5, v69, v6
	v_add_f16_sdwa v59, v73, v20 dst_sel:DWORD dst_unused:UNUSED_PAD src0_sel:DWORD src1_sel:WORD_1
	v_add_f16_e32 v44, v44, v23
	v_add_f16_e32 v21, v47, v16
	v_fmamk_f16 v14, v55, 0x3b9c, v45
	v_fmamk_f16 v47, v57, 0xbb9c, v46
	v_fmac_f16_e32 v62, 0xb8b4, v41
	v_add_f16_sdwa v19, v19, v23 dst_sel:DWORD dst_unused:UNUSED_PAD src0_sel:DWORD src1_sel:WORD_1
	v_add_f16_sdwa v12, v12, v16 dst_sel:DWORD dst_unused:UNUSED_PAD src0_sel:DWORD src1_sel:WORD_1
	v_fmac_f16_e32 v65, 0x38b4, v35
	v_fmac_f16_e32 v1, 0xb8b4, v35
	;; [unrolled: 1-line block ×7, first 2 shown]
	v_add_f16_e32 v75, v22, v24
	v_sub_f16_sdwa v76, v22, v24 dst_sel:DWORD dst_unused:UNUSED_PAD src0_sel:WORD_1 src1_sel:WORD_1
	v_sub_f16_e32 v77, v20, v22
	v_sub_f16_e32 v78, v22, v20
	v_add_f16_sdwa v79, v22, v24 dst_sel:DWORD dst_unused:UNUSED_PAD src0_sel:WORD_1 src1_sel:WORD_1
	v_sub_f16_e32 v80, v22, v24
	v_sub_f16_sdwa v129, v20, v22 dst_sel:DWORD dst_unused:UNUSED_PAD src0_sel:WORD_1 src1_sel:WORD_1
	v_sub_f16_sdwa v130, v22, v20 dst_sel:DWORD dst_unused:UNUSED_PAD src0_sel:WORD_1 src1_sel:WORD_1
	v_add_f16_e32 v60, v74, v22
	v_fmamk_f16 v63, v56, 0xbb9c, v6
	v_fmac_f16_e32 v6, 0x3b9c, v56
	v_fmamk_f16 v64, v58, 0x3b9c, v10
	v_fmac_f16_e32 v10, 0xbb9c, v58
	v_fmac_f16_e32 v45, 0xbb9c, v55
	;; [unrolled: 1-line block ×3, first 2 shown]
	v_add_f16_sdwa v59, v59, v22 dst_sel:DWORD dst_unused:UNUSED_PAD src0_sel:DWORD src1_sel:WORD_1
	v_add_f16_e32 v22, v44, v25
	v_fmac_f16_e32 v14, 0x38b4, v56
	v_fmac_f16_e32 v47, 0xb8b4, v58
	v_add_f16_e32 v16, v21, v18
	v_fmac_f16_e32 v62, 0x34f2, v39
	v_add_f16_sdwa v19, v19, v25 dst_sel:DWORD dst_unused:UNUSED_PAD src0_sel:DWORD src1_sel:WORD_1
	v_add_f16_sdwa v12, v12, v18 dst_sel:DWORD dst_unused:UNUSED_PAD src0_sel:DWORD src1_sel:WORD_1
	v_fmac_f16_e32 v65, 0x34f2, v51
	v_fmac_f16_e32 v1, 0x34f2, v51
	;; [unrolled: 1-line block ×6, first 2 shown]
	v_mul_f16_e32 v21, 0x3a79, v61
	v_mul_f16_e32 v23, 0xb8b4, v61
	v_fmac_f16_e32 v63, 0x38b4, v55
	v_fmac_f16_e32 v6, 0xb8b4, v55
	;; [unrolled: 1-line block ×8, first 2 shown]
	v_add_f16_e32 v18, v22, v16
	v_sub_f16_e32 v16, v22, v16
	v_add_f16_e32 v22, v19, v12
	v_mul_f16_e32 v25, 0xb4f2, v1
	v_mul_f16_e32 v35, 0xb4f2, v33
	v_mul_f16_e32 v36, 0x3b9c, v66
	v_mul_f16_e32 v37, 0xbb9c, v65
	v_sub_f16_e32 v12, v19, v12
	v_mul_f16_e32 v19, 0xba79, v34
	v_mul_f16_e32 v39, 0xba79, v38
	v_fmac_f16_e32 v21, 0x38b4, v62
	v_fmac_f16_e32 v23, 0x3a79, v62
	v_add_f16_e32 v133, v20, v26
	v_fmac_f16_e32 v63, 0x34f2, v49
	v_fmac_f16_e32 v6, 0x34f2, v49
	;; [unrolled: 1-line block ×6, first 2 shown]
	v_pack_b32_f16 v18, v18, v22
	v_fmac_f16_e32 v25, 0x3b9c, v33
	v_fmac_f16_e32 v35, 0xbb9c, v1
	;; [unrolled: 1-line block ×6, first 2 shown]
	v_pack_b32_f16 v22, v16, v12
	v_add_f16_e32 v1, v14, v21
	v_add_f16_e32 v12, v47, v23
	;; [unrolled: 1-line block ×6, first 2 shown]
	v_sub_f16_e32 v14, v14, v21
	v_sub_f16_e32 v21, v63, v36
	v_sub_f16_e32 v36, v64, v37
	v_add_f16_e32 v37, v45, v19
	v_add_f16_e32 v41, v46, v39
	v_sub_f16_e32 v6, v6, v25
	v_sub_f16_e32 v25, v45, v19
	;; [unrolled: 1-line block ×3, first 2 shown]
	v_pack_b32_f16 v19, v1, v12
	v_fma_f16 v12, -0.5, v75, v7
	v_fmac_f16_e32 v7, -0.5, v133
	v_sub_f16_sdwa v132, v20, v26 dst_sel:DWORD dst_unused:UNUSED_PAD src0_sel:WORD_1 src1_sel:WORD_1
	v_sub_f16_e32 v134, v20, v26
	v_sub_f16_e32 v23, v47, v23
	v_pack_b32_f16 v34, v16, v33
	v_pack_b32_f16 v36, v21, v36
	;; [unrolled: 1-line block ×4, first 2 shown]
	v_add_f16_sdwa v1, v20, v26 dst_sel:DWORD dst_unused:UNUSED_PAD src0_sel:WORD_1 src1_sel:WORD_1
	v_add_f16_sdwa v10, v59, v24 dst_sel:DWORD dst_unused:UNUSED_PAD src0_sel:DWORD src1_sel:WORD_1
	v_sub_f16_e32 v16, v24, v26
	v_fmamk_f16 v20, v76, 0xbb9c, v7
	v_fmac_f16_e32 v7, 0x3b9c, v76
	v_sub_f16_e32 v39, v46, v39
	v_pack_b32_f16 v33, v38, v40
	v_pack_b32_f16 v35, v14, v23
	v_add_f16_sdwa v23, v10, v26 dst_sel:DWORD dst_unused:UNUSED_PAD src0_sel:DWORD src1_sel:WORD_1
	v_add_f16_e32 v10, v78, v16
	v_fmac_f16_e32 v20, 0x38b4, v132
	v_fmac_f16_e32 v7, 0xb8b4, v132
	v_pack_b32_f16 v38, v25, v39
	ds_write2_b64 v131, v[18:19], v[33:34] offset1:1
	v_add_f16_e32 v16, v27, v4
	v_fmac_f16_e32 v20, 0x34f2, v10
	v_fmac_f16_e32 v7, 0x34f2, v10
	v_lshrrev_b32_e32 v10, 16, v2
	v_add_f16_sdwa v25, v29, v31 dst_sel:DWORD dst_unused:UNUSED_PAD src0_sel:WORD_1 src1_sel:WORD_1
	v_add_f16_sdwa v33, v27, v4 dst_sel:DWORD dst_unused:UNUSED_PAD src0_sel:WORD_1 src1_sel:WORD_1
	v_add_f16_e32 v6, v60, v24
	v_sub_f16_e32 v14, v26, v24
	v_sub_f16_sdwa v18, v26, v24 dst_sel:DWORD dst_unused:UNUSED_PAD src0_sel:WORD_1 src1_sel:WORD_1
	v_sub_f16_sdwa v19, v24, v26 dst_sel:DWORD dst_unused:UNUSED_PAD src0_sel:WORD_1 src1_sel:WORD_1
	v_fma_f16 v24, -0.5, v79, v73
	v_fmac_f16_e32 v73, -0.5, v1
	v_fma_f16 v1, -0.5, v16, v2
	v_sub_f16_sdwa v16, v29, v31 dst_sel:DWORD dst_unused:UNUSED_PAD src0_sel:WORD_1 src1_sel:WORD_1
	v_fma_f16 v25, -0.5, v25, v10
	v_add_f16_sdwa v40, v10, v27 dst_sel:DWORD dst_unused:UNUSED_PAD src0_sel:DWORD src1_sel:WORD_1
	v_fmac_f16_e32 v10, -0.5, v33
	v_sub_f16_e32 v33, v29, v31
	v_add_f16_e32 v6, v6, v26
	v_sub_f16_e32 v26, v29, v27
	v_sub_f16_e32 v34, v31, v4
	v_fmamk_f16 v39, v16, 0xbb9c, v1
	v_fmac_f16_e32 v1, 0x3b9c, v16
	v_sub_f16_sdwa v41, v27, v4 dst_sel:DWORD dst_unused:UNUSED_PAD src0_sel:WORD_1 src1_sel:WORD_1
	v_sub_f16_sdwa v42, v29, v27 dst_sel:DWORD dst_unused:UNUSED_PAD src0_sel:WORD_1 src1_sel:WORD_1
	;; [unrolled: 1-line block ×3, first 2 shown]
	v_fmamk_f16 v44, v33, 0x3b9c, v10
	v_fmac_f16_e32 v10, 0xbb9c, v33
	v_sub_f16_e32 v45, v27, v4
	v_add_f16_e32 v26, v26, v34
	v_fmac_f16_e32 v1, 0xb8b4, v41
	v_add_f16_e32 v34, v42, v43
	v_fmamk_f16 v46, v80, 0x3b9c, v73
	v_fmac_f16_e32 v10, 0x38b4, v45
	v_fmac_f16_e32 v73, 0xbb9c, v80
	v_fmac_f16_e32 v1, 0x34f2, v26
	v_fmac_f16_e32 v44, 0xb8b4, v45
	v_add_f16_e32 v19, v130, v19
	v_fmac_f16_e32 v10, 0x34f2, v34
	v_fmac_f16_e32 v39, 0x38b4, v41
	;; [unrolled: 1-line block ×3, first 2 shown]
	v_mul_f16_e32 v42, 0xb4f2, v1
	v_fmac_f16_e32 v44, 0x34f2, v34
	v_mul_f16_e32 v43, 0xb4f2, v10
	v_fmac_f16_e32 v39, 0x34f2, v26
	v_fmac_f16_e32 v73, 0x34f2, v19
	;; [unrolled: 1-line block ×3, first 2 shown]
	v_mul_f16_e32 v26, 0x3b9c, v44
	v_fmac_f16_e32 v43, 0xbb9c, v1
	v_add_f16_e32 v1, v29, v31
	v_fmac_f16_e32 v46, 0xb8b4, v134
	v_mul_f16_e32 v34, 0xbb9c, v39
	v_add_f16_e32 v10, v7, v42
	v_add_f16_e32 v47, v73, v43
	v_fmac_f16_e32 v26, 0x34f2, v39
	v_fma_f16 v39, -0.5, v1, v2
	v_fmac_f16_e32 v46, 0x34f2, v19
	v_fmac_f16_e32 v34, 0x34f2, v44
	v_pack_b32_f16 v19, v10, v47
	v_sub_f16_e32 v1, v27, v29
	v_sub_f16_e32 v10, v4, v31
	v_fmamk_f16 v44, v41, 0x3b9c, v39
	v_sub_f16_sdwa v47, v27, v29 dst_sel:DWORD dst_unused:UNUSED_PAD src0_sel:WORD_1 src1_sel:WORD_1
	v_sub_f16_sdwa v49, v4, v31 dst_sel:DWORD dst_unused:UNUSED_PAD src0_sel:WORD_1 src1_sel:WORD_1
	v_fmamk_f16 v50, v45, 0xbb9c, v25
	v_add_f16_e32 v51, v1, v10
	v_fmac_f16_e32 v44, 0x38b4, v16
	v_add_f16_e32 v2, v2, v27
	v_add_f16_e32 v47, v47, v49
	v_fmac_f16_e32 v50, 0xb8b4, v33
	v_fmamk_f16 v55, v132, 0x3b9c, v12
	v_fmac_f16_e32 v44, 0x34f2, v51
	v_fmamk_f16 v56, v134, 0xbb9c, v24
	v_add_f16_e32 v2, v2, v29
	v_add_f16_sdwa v10, v40, v29 dst_sel:DWORD dst_unused:UNUSED_PAD src0_sel:DWORD src1_sel:WORD_1
	v_add_f16_e32 v14, v77, v14
	v_add_f16_e32 v52, v129, v18
	v_fmac_f16_e32 v50, 0x34f2, v47
	v_mul_f16_e32 v27, 0x3a79, v44
	v_mul_f16_e32 v44, 0xb8b4, v44
	v_fmac_f16_e32 v55, 0x38b4, v76
	v_fmac_f16_e32 v56, 0xb8b4, v80
	v_add_f16_e32 v2, v2, v31
	v_add_f16_sdwa v10, v10, v31 dst_sel:DWORD dst_unused:UNUSED_PAD src0_sel:DWORD src1_sel:WORD_1
	v_fmac_f16_e32 v27, 0x38b4, v50
	v_fmac_f16_e32 v44, 0x3a79, v50
	;; [unrolled: 1-line block ×4, first 2 shown]
	v_add_f16_e32 v29, v2, v4
	v_add_f16_sdwa v4, v10, v4 dst_sel:DWORD dst_unused:UNUSED_PAD src0_sel:DWORD src1_sel:WORD_1
	v_add_co_u32 v10, null, 0x64, v112
	v_add_f16_e32 v2, v55, v27
	v_add_f16_e32 v31, v56, v44
	;; [unrolled: 1-line block ×6, first 2 shown]
	v_mul_u32_u24_e32 v57, 10, v10
	v_pack_b32_f16 v2, v2, v31
	v_lshrrev_b32_e32 v31, 16, v0
	ds_write2_b64 v131, v[21:22], v[35:36] offset0:2 offset1:3
	v_add_f16_e32 v21, v0, v11
	v_pack_b32_f16 v18, v1, v49
	v_pack_b32_f16 v1, v40, v50
	v_lshlrev_b32_e32 v130, 2, v57
	v_add_f16_sdwa v22, v31, v11 dst_sel:DWORD dst_unused:UNUSED_PAD src0_sel:DWORD src1_sel:WORD_1
	ds_write_b64 v131, v[37:38] offset:32
	ds_write2_b64 v130, v[1:2], v[18:19] offset1:1
	v_add_f16_e32 v1, v21, v13
	v_add_f16_sdwa v2, v22, v13 dst_sel:DWORD dst_unused:UNUSED_PAD src0_sel:DWORD src1_sel:WORD_1
	v_lshrrev_b32_e32 v49, 16, v3
	v_add_f16_e32 v59, v3, v28
	v_add_f16_sdwa v64, v30, v32 dst_sel:DWORD dst_unused:UNUSED_PAD src0_sel:WORD_1 src1_sel:WORD_1
	v_add_f16_e32 v1, v1, v15
	v_add_f16_sdwa v68, v28, v5 dst_sel:DWORD dst_unused:UNUSED_PAD src0_sel:WORD_1 src1_sel:WORD_1
	v_add_f16_sdwa v2, v2, v15 dst_sel:DWORD dst_unused:UNUSED_PAD src0_sel:DWORD src1_sel:WORD_1
	v_add_f16_sdwa v60, v49, v28 dst_sel:DWORD dst_unused:UNUSED_PAD src0_sel:DWORD src1_sel:WORD_1
	v_sub_f16_e32 v65, v30, v32
	v_add_f16_e32 v61, v1, v17
	v_add_f16_e32 v1, v59, v30
	;; [unrolled: 1-line block ×4, first 2 shown]
	v_fma_f16 v64, -0.5, v64, v49
	v_fmac_f16_e32 v49, -0.5, v68
	v_sub_f16_e32 v7, v7, v42
	v_add_f16_e32 v18, v13, v15
	v_sub_f16_sdwa v19, v13, v15 dst_sel:DWORD dst_unused:UNUSED_PAD src0_sel:WORD_1 src1_sel:WORD_1
	v_sub_f16_e32 v21, v11, v13
	v_sub_f16_e32 v22, v13, v11
	v_add_f16_sdwa v35, v13, v15 dst_sel:DWORD dst_unused:UNUSED_PAD src0_sel:WORD_1 src1_sel:WORD_1
	v_sub_f16_e32 v36, v13, v15
	v_sub_f16_sdwa v37, v11, v13 dst_sel:DWORD dst_unused:UNUSED_PAD src0_sel:WORD_1 src1_sel:WORD_1
	v_sub_f16_sdwa v13, v13, v11 dst_sel:DWORD dst_unused:UNUSED_PAD src0_sel:WORD_1 src1_sel:WORD_1
	;; [unrolled: 1-line block ×3, first 2 shown]
	v_add_f16_e32 v40, v11, v17
	v_sub_f16_e32 v42, v11, v17
	v_add_f16_sdwa v11, v11, v17 dst_sel:DWORD dst_unused:UNUSED_PAD src0_sel:WORD_1 src1_sel:WORD_1
	v_sub_f16_e32 v50, v17, v15
	v_sub_f16_e32 v57, v15, v17
	v_sub_f16_sdwa v58, v17, v15 dst_sel:DWORD dst_unused:UNUSED_PAD src0_sel:WORD_1 src1_sel:WORD_1
	v_sub_f16_sdwa v15, v15, v17 dst_sel:DWORD dst_unused:UNUSED_PAD src0_sel:WORD_1 src1_sel:WORD_1
	v_add_f16_sdwa v17, v2, v17 dst_sel:DWORD dst_unused:UNUSED_PAD src0_sel:DWORD src1_sel:WORD_1
	v_add_f16_sdwa v2, v60, v30 dst_sel:DWORD dst_unused:UNUSED_PAD src0_sel:DWORD src1_sel:WORD_1
	v_sub_f16_sdwa v60, v30, v32 dst_sel:DWORD dst_unused:UNUSED_PAD src0_sel:WORD_1 src1_sel:WORD_1
	v_sub_f16_e32 v62, v28, v30
	v_sub_f16_e32 v63, v30, v28
	v_sub_f16_sdwa v66, v28, v30 dst_sel:DWORD dst_unused:UNUSED_PAD src0_sel:WORD_1 src1_sel:WORD_1
	v_sub_f16_sdwa v30, v30, v28 dst_sel:DWORD dst_unused:UNUSED_PAD src0_sel:WORD_1 src1_sel:WORD_1
	;; [unrolled: 1-line block ×3, first 2 shown]
	v_sub_f16_e32 v28, v28, v5
	v_sub_f16_sdwa v68, v32, v5 dst_sel:DWORD dst_unused:UNUSED_PAD src0_sel:WORD_1 src1_sel:WORD_1
	v_fma_f16 v59, -0.5, v59, v3
	v_fmac_f16_e32 v3, -0.5, v69
	v_fmamk_f16 v69, v65, 0x3b9c, v49
	v_fmac_f16_e32 v49, 0xbb9c, v65
	v_fmac_f16_e32 v25, 0x3b9c, v45
	v_sub_f16_e32 v70, v32, v5
	v_add_f16_e32 v30, v30, v68
	v_fmamk_f16 v68, v60, 0xbb9c, v3
	v_fmac_f16_e32 v3, 0x3b9c, v60
	v_fmac_f16_e32 v49, 0x38b4, v28
	;; [unrolled: 1-line block ×4, first 2 shown]
	v_add_f16_e32 v1, v1, v32
	v_add_f16_sdwa v2, v2, v32 dst_sel:DWORD dst_unused:UNUSED_PAD src0_sel:DWORD src1_sel:WORD_1
	v_add_f16_e32 v63, v63, v70
	v_fmac_f16_e32 v3, 0xb8b4, v67
	v_fmac_f16_e32 v49, 0x34f2, v30
	v_fma_f16 v18, -0.5, v18, v0
	v_fmac_f16_e32 v0, -0.5, v40
	v_fmac_f16_e32 v39, 0xb8b4, v16
	v_fmac_f16_e32 v24, 0x3b9c, v134
	;; [unrolled: 1-line block ×3, first 2 shown]
	v_sub_f16_e32 v74, v5, v32
	v_sub_f16_sdwa v32, v5, v32 dst_sel:DWORD dst_unused:UNUSED_PAD src0_sel:WORD_1 src1_sel:WORD_1
	v_add_f16_e32 v40, v1, v5
	v_fmac_f16_e32 v3, 0x34f2, v63
	v_add_f16_sdwa v5, v2, v5 dst_sel:DWORD dst_unused:UNUSED_PAD src0_sel:DWORD src1_sel:WORD_1
	v_mul_f16_e32 v70, 0xb4f2, v49
	v_fmamk_f16 v75, v19, 0xbb9c, v0
	v_fmac_f16_e32 v0, 0x3b9c, v19
	v_add_f16_e32 v2, v22, v57
	v_fmac_f16_e32 v12, 0xbb9c, v132
	v_fmac_f16_e32 v39, 0x34f2, v51
	;; [unrolled: 1-line block ×3, first 2 shown]
	v_mul_f16_e32 v22, 0xba79, v25
	v_mul_f16_e32 v1, 0xb4f2, v3
	v_fmac_f16_e32 v0, 0xb8b4, v38
	v_fmac_f16_e32 v70, 0xbb9c, v3
	;; [unrolled: 1-line block ×3, first 2 shown]
	v_mul_f16_e32 v3, 0xba79, v39
	v_fmac_f16_e32 v24, 0x34f2, v52
	v_fmac_f16_e32 v22, 0xb8b4, v39
	;; [unrolled: 1-line block ×6, first 2 shown]
	v_add_f16_e32 v25, v24, v22
	v_sub_f16_e32 v22, v24, v22
	v_fma_f16 v24, -0.5, v35, v31
	v_fmac_f16_e32 v31, -0.5, v11
	v_add_f16_e32 v16, v0, v1
	v_sub_f16_e32 v33, v0, v1
	v_sub_f16_e32 v1, v20, v26
	v_add_f16_e32 v14, v12, v3
	v_sub_f16_e32 v12, v12, v3
	v_fmamk_f16 v3, v38, 0x3b9c, v18
	v_fmac_f16_e32 v18, 0xbb9c, v38
	v_fmac_f16_e32 v75, 0x38b4, v38
	v_fmamk_f16 v26, v36, 0x3b9c, v31
	v_fmac_f16_e32 v31, 0xbb9c, v36
	v_add_f16_e32 v21, v21, v50
	v_fmac_f16_e32 v3, 0x38b4, v19
	v_fmac_f16_e32 v18, 0xb8b4, v19
	v_fmamk_f16 v11, v42, 0xbb9c, v24
	v_fmac_f16_e32 v24, 0x3b9c, v42
	v_add_f16_e32 v13, v13, v15
	v_fmac_f16_e32 v26, 0xb8b4, v42
	v_fmac_f16_e32 v31, 0x38b4, v42
	;; [unrolled: 1-line block ×3, first 2 shown]
	v_fmamk_f16 v2, v67, 0x3b9c, v59
	v_fmac_f16_e32 v3, 0x34f2, v21
	v_fmac_f16_e32 v18, 0x34f2, v21
	v_add_f16_e32 v21, v37, v58
	v_fmac_f16_e32 v11, 0xb8b4, v36
	v_fmac_f16_e32 v24, 0x38b4, v36
	;; [unrolled: 1-line block ×5, first 2 shown]
	v_add_f16_e32 v13, v62, v74
	v_fmac_f16_e32 v2, 0x38b4, v60
	v_fmamk_f16 v15, v28, 0xbb9c, v64
	v_fmac_f16_e32 v11, 0x34f2, v21
	v_fmac_f16_e32 v24, 0x34f2, v21
	;; [unrolled: 1-line block ×3, first 2 shown]
	v_add_f16_e32 v21, v66, v32
	v_fmac_f16_e32 v15, 0xb8b4, v65
	v_fmac_f16_e32 v2, 0x34f2, v13
	;; [unrolled: 1-line block ×4, first 2 shown]
	v_sub_f16_e32 v6, v6, v29
	v_fmac_f16_e32 v15, 0x34f2, v21
	v_mul_f16_e32 v13, 0x3a79, v2
	v_sub_f16_e32 v0, v55, v27
	v_sub_f16_e32 v4, v23, v4
	;; [unrolled: 1-line block ×4, first 2 shown]
	v_fmac_f16_e32 v13, 0x38b4, v15
	v_fmac_f16_e32 v68, 0x38b4, v67
	;; [unrolled: 1-line block ×4, first 2 shown]
	v_pack_b32_f16 v0, v0, v20
	v_add_f16_e32 v29, v3, v13
	v_sub_f16_e32 v13, v3, v13
	v_pack_b32_f16 v3, v14, v25
	v_and_b32_e32 v14, 0xff, v8
	v_pack_b32_f16 v1, v1, v23
	v_pack_b32_f16 v4, v6, v4
	v_fmac_f16_e32 v68, 0x34f2, v63
	v_fmac_f16_e32 v69, 0x34f2, v30
	v_mul_lo_u16 v6, 0xcd, v14
	v_fmac_f16_e32 v64, 0x34f2, v21
	v_mul_f16_e32 v23, 0xb8b4, v2
	ds_write2_b64 v130, v[3:4], v[0:1] offset0:2 offset1:3
	v_mul_f16_e32 v20, 0x3b9c, v69
	v_lshrrev_b16 v0, 11, v6
	v_mul_f16_e32 v21, 0xba79, v59
	v_mul_f16_e32 v27, 0xbb9c, v68
	v_fmac_f16_e32 v23, 0x3a79, v15
	v_mul_f16_e32 v15, 0xba79, v64
	v_mul_lo_u16 v1, v0, 10
	v_fmac_f16_e32 v20, 0x34f2, v68
	v_fmac_f16_e32 v21, 0x38b4, v64
	v_add_co_u32 v2, null, 0xc8, v112
	v_fmac_f16_e32 v27, 0x34f2, v69
	v_fmac_f16_e32 v15, 0xb8b4, v59
	v_sub_f16_e32 v19, v73, v43
	v_sub_nc_u16 v1, v8, v1
	v_add_f16_e32 v28, v61, v40
	v_add_f16_e32 v32, v75, v20
	;; [unrolled: 1-line block ×4, first 2 shown]
	v_sub_f16_e32 v21, v18, v21
	v_add_f16_e32 v18, v11, v23
	v_sub_f16_e32 v36, v17, v5
	v_add_f16_e32 v5, v26, v27
	v_add_f16_e32 v17, v31, v70
	v_sub_f16_e32 v23, v11, v23
	v_mul_u32_u24_e32 v11, 10, v2
	v_sub_f16_e32 v30, v61, v40
	v_sub_f16_e32 v20, v75, v20
	v_add_f16_e32 v25, v24, v15
	v_sub_f16_e32 v26, v26, v27
	v_sub_f16_e32 v27, v31, v70
	;; [unrolled: 1-line block ×3, first 2 shown]
	v_pack_b32_f16 v4, v12, v22
	v_pack_b32_f16 v3, v7, v19
	v_and_b32_e32 v1, 0xff, v1
	v_lshlrev_b32_e32 v134, 2, v11
	v_pack_b32_f16 v6, v29, v18
	v_pack_b32_f16 v12, v16, v17
	;; [unrolled: 1-line block ×10, first 2 shown]
	ds_write_b64 v130, v[3:4] offset:32
	ds_write2_b64 v134, v[5:6], v[11:12] offset1:1
	ds_write2_b64 v134, v[17:18], v[15:16] offset0:2 offset1:3
	v_lshlrev_b32_e32 v3, 3, v1
	v_and_b32_e32 v11, 0xff, v10
	v_mov_b32_e32 v4, 0xcccd
	ds_write_b64 v134, v[19:20] offset:32
	s_waitcnt lgkmcnt(0)
	s_barrier
	buffer_gl0_inv
	global_load_dwordx2 v[49:50], v3, s[2:3]
	v_mul_lo_u16 v3, 0xcd, v11
	v_add_co_u32 v12, null, 0x12c, v112
	v_add_co_u32 v16, null, 0x1f4, v112
	v_lshrrev_b16 v7, 11, v3
	v_mul_u32_u24_sdwa v15, v12, v4 dst_sel:DWORD dst_unused:UNUSED_PAD src0_sel:WORD_0 src1_sel:DWORD
	v_mov_b32_e32 v129, 30
	v_mul_u32_u24_sdwa v17, v16, v4 dst_sel:DWORD dst_unused:UNUSED_PAD src0_sel:WORD_0 src1_sel:DWORD
	v_mul_lo_u16 v14, 0x89, v14
	v_mul_lo_u16 v3, v7, 10
	v_lshrrev_b32_e32 v44, 19, v15
	v_add_co_u32 v15, null, 0x190, v112
	v_lshrrev_b32_e32 v46, 19, v17
	v_sub_nc_u16 v3, v10, v3
	v_mul_u32_u24_sdwa v0, v0, v129 dst_sel:DWORD dst_unused:UNUSED_PAD src0_sel:WORD_0 src1_sel:DWORD
	v_mul_u32_u24_sdwa v7, v7, v129 dst_sel:DWORD dst_unused:UNUSED_PAD src0_sel:WORD_0 src1_sel:DWORD
	v_lshrrev_b16 v14, 12, v14
	v_and_b32_e32 v6, 0xff, v3
	v_add_lshl_u32 v133, v0, v1, 2
	v_lshlrev_b32_e32 v3, 3, v6
	global_load_dwordx2 v[51:52], v3, s[2:3]
	v_mul_u32_u24_sdwa v3, v2, v4 dst_sel:DWORD dst_unused:UNUSED_PAD src0_sel:WORD_0 src1_sel:DWORD
	v_lshrrev_b32_e32 v5, 19, v3
	v_mul_lo_u16 v3, v5, 10
	v_sub_nc_u16 v13, v2, v3
	v_lshlrev_b16 v3, 1, v13
	v_mad_u16 v5, v5, 30, v13
	v_lshlrev_b32_sdwa v3, v9, v3 dst_sel:DWORD dst_unused:UNUSED_PAD src0_sel:DWORD src1_sel:WORD_0
	global_load_dwordx2 v[59:60], v3, s[2:3]
	v_mul_lo_u16 v3, v44, 10
	v_sub_nc_u16 v45, v12, v3
	v_lshlrev_b16 v3, 1, v45
	v_lshlrev_b32_sdwa v3, v9, v3 dst_sel:DWORD dst_unused:UNUSED_PAD src0_sel:DWORD src1_sel:WORD_0
	global_load_dwordx2 v[57:58], v3, s[2:3]
	v_mul_u32_u24_sdwa v3, v15, v4 dst_sel:DWORD dst_unused:UNUSED_PAD src0_sel:WORD_0 src1_sel:DWORD
	v_lshrrev_b32_e32 v12, 19, v3
	v_mul_lo_u16 v3, v12, 10
	v_sub_nc_u16 v15, v15, v3
	v_lshlrev_b16 v3, 1, v15
	v_mad_u16 v12, v12, 30, v15
	v_lshlrev_b32_sdwa v3, v9, v3 dst_sel:DWORD dst_unused:UNUSED_PAD src0_sel:DWORD src1_sel:WORD_0
	v_lshlrev_b32_sdwa v141, v9, v12 dst_sel:DWORD dst_unused:UNUSED_PAD src0_sel:DWORD src1_sel:WORD_0
	global_load_dwordx2 v[69:70], v3, s[2:3]
	v_mul_lo_u16 v3, v46, 10
	v_sub_nc_u16 v47, v16, v3
	v_add_co_u32 v16, null, 0x258, v112
	v_lshlrev_b16 v3, 1, v47
	v_lshlrev_b32_sdwa v3, v9, v3 dst_sel:DWORD dst_unused:UNUSED_PAD src0_sel:DWORD src1_sel:WORD_0
	global_load_dwordx2 v[67:68], v3, s[2:3]
	v_mul_u32_u24_sdwa v3, v16, v4 dst_sel:DWORD dst_unused:UNUSED_PAD src0_sel:WORD_0 src1_sel:DWORD
	v_lshrrev_b32_e32 v73, 19, v3
	v_mul_lo_u16 v3, v73, 10
	v_sub_nc_u16 v74, v16, v3
	v_add_co_u32 v3, null, 0x2bc, v112
	v_lshlrev_b16 v16, 1, v74
	v_mul_u32_u24_sdwa v17, v3, v4 dst_sel:DWORD dst_unused:UNUSED_PAD src0_sel:WORD_0 src1_sel:DWORD
	v_lshlrev_b32_sdwa v16, v9, v16 dst_sel:DWORD dst_unused:UNUSED_PAD src0_sel:DWORD src1_sel:WORD_0
	v_lshrrev_b32_e32 v75, 19, v17
	global_load_dwordx2 v[63:64], v16, s[2:3]
	v_mul_lo_u16 v16, v75, 10
	v_sub_nc_u16 v76, v3, v16
	v_lshlrev_b16 v3, 1, v76
	v_lshlrev_b32_sdwa v3, v9, v3 dst_sel:DWORD dst_unused:UNUSED_PAD src0_sel:DWORD src1_sel:WORD_0
	global_load_dwordx2 v[65:66], v3, s[2:3]
	v_add_co_u32 v3, null, 0x320, v112
	v_mul_u32_u24_sdwa v16, v3, v4 dst_sel:DWORD dst_unused:UNUSED_PAD src0_sel:WORD_0 src1_sel:DWORD
	v_lshrrev_b32_e32 v77, 19, v16
	v_mul_lo_u16 v16, v77, 10
	v_sub_nc_u16 v78, v3, v16
	v_add_co_u32 v16, null, 0x384, v112
	v_lshlrev_b16 v3, 1, v78
	v_mul_u32_u24_sdwa v4, v16, v4 dst_sel:DWORD dst_unused:UNUSED_PAD src0_sel:WORD_0 src1_sel:DWORD
	v_lshlrev_b32_sdwa v3, v9, v3 dst_sel:DWORD dst_unused:UNUSED_PAD src0_sel:DWORD src1_sel:WORD_0
	global_load_dwordx2 v[61:62], v3, s[2:3]
	v_lshrrev_b32_e32 v3, 19, v4
	v_mul_lo_u16 v4, v3, 10
	v_sub_nc_u16 v4, v16, v4
	v_lshlrev_b16 v16, 1, v4
	v_mad_u16 v3, v3, 30, v4
	v_lshlrev_b32_sdwa v20, v9, v16 dst_sel:DWORD dst_unused:UNUSED_PAD src0_sel:DWORD src1_sel:WORD_0
	ds_read2_b32 v[16:17], v107 offset0:104 offset1:204
	ds_read2_b32 v[18:19], v120 offset0:80 offset1:180
	v_lshlrev_b32_sdwa v145, v9, v3 dst_sel:DWORD dst_unused:UNUSED_PAD src0_sel:DWORD src1_sel:WORD_0
	global_load_dwordx2 v[55:56], v20, s[2:3]
	ds_read2_b32 v[20:21], v116 offset1:100
	s_waitcnt lgkmcnt(2)
	v_lshrrev_b32_e32 v22, 16, v16
	s_waitcnt lgkmcnt(1)
	v_lshrrev_b32_e32 v23, 16, v18
	v_lshrrev_b32_e32 v135, 16, v17
	;; [unrolled: 1-line block ×3, first 2 shown]
	s_waitcnt lgkmcnt(0)
	v_lshrrev_b32_e32 v79, 16, v20
	s_waitcnt vmcnt(9)
	v_mul_f16_sdwa v24, v16, v49 dst_sel:DWORD dst_unused:UNUSED_PAD src0_sel:DWORD src1_sel:WORD_1
	v_mul_f16_sdwa v25, v18, v50 dst_sel:DWORD dst_unused:UNUSED_PAD src0_sel:DWORD src1_sel:WORD_1
	v_mul_f16_sdwa v26, v22, v49 dst_sel:DWORD dst_unused:UNUSED_PAD src0_sel:DWORD src1_sel:WORD_1
	v_mul_f16_sdwa v27, v23, v50 dst_sel:DWORD dst_unused:UNUSED_PAD src0_sel:DWORD src1_sel:WORD_1
	v_fmac_f16_e32 v24, v22, v49
	v_fmac_f16_e32 v25, v23, v50
	v_fma_f16 v16, v16, v49, -v26
	v_fma_f16 v18, v18, v50, -v27
	v_add_f16_e32 v23, v79, v24
	v_add_f16_e32 v22, v24, v25
	v_sub_f16_e32 v80, v24, v25
	v_add_f16_e32 v26, v16, v18
	v_add_f16_e32 v23, v23, v25
	v_fmac_f16_e32 v79, -0.5, v22
	v_add_f16_e32 v22, v20, v16
	v_fma_f16 v20, -0.5, v26, v20
	v_sub_f16_e32 v16, v16, v18
	v_add_f16_e32 v18, v22, v18
	v_fmamk_f16 v22, v80, 0x3aee, v20
	v_fmamk_f16 v24, v16, 0xbaee, v79
	v_fmac_f16_e32 v20, 0xbaee, v80
	v_lshrrev_b32_e32 v80, 16, v21
	v_pack_b32_f16 v18, v18, v23
	v_fmac_f16_e32 v79, 0x3aee, v16
	v_pack_b32_f16 v132, v22, v24
	ds_read2_b32 v[22:23], v126 offset0:72 offset1:172
	ds_read2_b32 v[24:25], v123 offset0:48 offset1:148
	;; [unrolled: 1-line block ×11, first 2 shown]
	s_waitcnt vmcnt(8)
	v_mul_f16_sdwa v137, v135, v51 dst_sel:DWORD dst_unused:UNUSED_PAD src0_sel:DWORD src1_sel:WORD_1
	v_mul_f16_sdwa v138, v136, v52 dst_sel:DWORD dst_unused:UNUSED_PAD src0_sel:DWORD src1_sel:WORD_1
	;; [unrolled: 1-line block ×4, first 2 shown]
	ds_read2_b32 v[42:43], v98 offset0:112 offset1:212
	v_fma_f16 v17, v17, v51, -v137
	v_fma_f16 v19, v19, v52, -v138
	v_fmac_f16_e32 v139, v135, v51
	v_fmac_f16_e32 v140, v136, v52
	s_waitcnt vmcnt(0) lgkmcnt(0)
	v_add_f16_e32 v136, v21, v17
	v_add_f16_e32 v135, v17, v19
	;; [unrolled: 1-line block ×4, first 2 shown]
	v_sub_f16_e32 v138, v139, v140
	s_barrier
	v_fmac_f16_e32 v21, -0.5, v135
	buffer_gl0_inv
	v_fmac_f16_e32 v80, -0.5, v16
	v_sub_f16_e32 v16, v17, v19
	v_add_f16_e32 v17, v137, v140
	v_add_f16_e32 v19, v136, v19
	v_fmamk_f16 v129, v138, 0x3aee, v21
	v_pack_b32_f16 v20, v20, v79
	v_fmamk_f16 v136, v16, 0xbaee, v80
	ds_write2_b32 v133, v18, v132 offset1:10
	v_add_lshl_u32 v135, v7, v6, 2
	v_pack_b32_f16 v6, v19, v17
	v_lshrrev_b32_e32 v17, 16, v24
	v_lshrrev_b32_e32 v18, 16, v26
	v_pack_b32_f16 v7, v129, v136
	ds_write_b32 v133, v20 offset:80
	v_mul_f16_sdwa v19, v24, v59 dst_sel:DWORD dst_unused:UNUSED_PAD src0_sel:DWORD src1_sel:WORD_1
	v_mul_f16_sdwa v20, v26, v60 dst_sel:DWORD dst_unused:UNUSED_PAD src0_sel:DWORD src1_sel:WORD_1
	;; [unrolled: 1-line block ×4, first 2 shown]
	v_fmac_f16_e32 v21, 0xbaee, v138
	v_fmac_f16_e32 v80, 0x3aee, v16
	v_fmac_f16_e32 v19, v17, v59
	v_fmac_f16_e32 v20, v18, v60
	v_fma_f16 v16, v24, v59, -v79
	v_fma_f16 v17, v26, v60, -v129
	v_lshrrev_b32_e32 v18, 16, v22
	ds_write2_b32 v135, v6, v7 offset1:10
	v_pack_b32_f16 v6, v21, v80
	v_add_f16_e32 v7, v19, v20
	v_add_f16_e32 v21, v16, v17
	;; [unrolled: 1-line block ×3, first 2 shown]
	v_sub_f16_e32 v19, v19, v20
	v_add_f16_e32 v26, v22, v16
	v_fmac_f16_e32 v18, -0.5, v7
	v_fma_f16 v7, -0.5, v21, v22
	v_sub_f16_e32 v16, v16, v17
	v_add_f16_e32 v20, v24, v20
	v_add_f16_e32 v17, v26, v17
	ds_write_b32 v135, v6 offset:80
	v_fmamk_f16 v6, v19, 0x3aee, v7
	v_fmamk_f16 v21, v16, 0xbaee, v18
	v_lshrrev_b32_e32 v22, 16, v25
	v_lshrrev_b32_e32 v24, 16, v27
	v_pack_b32_f16 v13, v17, v20
	v_mul_f16_sdwa v26, v27, v58 dst_sel:DWORD dst_unused:UNUSED_PAD src0_sel:DWORD src1_sel:WORD_1
	v_pack_b32_f16 v6, v6, v21
	v_mul_f16_sdwa v17, v22, v57 dst_sel:DWORD dst_unused:UNUSED_PAD src0_sel:DWORD src1_sel:WORD_1
	v_mul_f16_sdwa v20, v24, v58 dst_sel:DWORD dst_unused:UNUSED_PAD src0_sel:DWORD src1_sel:WORD_1
	;; [unrolled: 1-line block ×3, first 2 shown]
	v_lshlrev_b32_sdwa v137, v9, v5 dst_sel:DWORD dst_unused:UNUSED_PAD src0_sel:DWORD src1_sel:WORD_0
	v_fmac_f16_e32 v26, v24, v58
	v_fma_f16 v5, v25, v57, -v17
	v_fma_f16 v17, v27, v58, -v20
	v_fmac_f16_e32 v21, v22, v57
	v_fmac_f16_e32 v7, 0xbaee, v19
	v_lshrrev_b32_e32 v19, 16, v23
	v_fmac_f16_e32 v18, 0x3aee, v16
	v_add_f16_e32 v20, v5, v17
	v_add_f16_e32 v16, v21, v26
	v_add_f16_e32 v22, v23, v5
	v_add_f16_e32 v24, v19, v21
	v_sub_f16_e32 v5, v5, v17
	v_fmac_f16_e32 v23, -0.5, v20
	v_sub_f16_e32 v20, v21, v26
	v_fmac_f16_e32 v19, -0.5, v16
	v_add_f16_e32 v16, v24, v26
	v_add_f16_e32 v17, v22, v17
	v_pack_b32_f16 v7, v7, v18
	v_fmamk_f16 v18, v20, 0x3aee, v23
	v_fmamk_f16 v21, v5, 0xbaee, v19
	ds_write2_b32 v137, v13, v6 offset1:10
	ds_write_b32 v137, v7 offset:80
	v_pack_b32_f16 v6, v17, v16
	v_lshrrev_b32_e32 v13, 16, v30
	v_lshrrev_b32_e32 v16, 16, v32
	v_mad_u16 v22, v44, 30, v45
	v_pack_b32_f16 v7, v18, v21
	v_fmac_f16_e32 v23, 0xbaee, v20
	v_mul_f16_sdwa v17, v30, v69 dst_sel:DWORD dst_unused:UNUSED_PAD src0_sel:DWORD src1_sel:WORD_1
	v_mul_f16_sdwa v18, v32, v70 dst_sel:DWORD dst_unused:UNUSED_PAD src0_sel:DWORD src1_sel:WORD_1
	;; [unrolled: 1-line block ×4, first 2 shown]
	v_lshlrev_b32_sdwa v138, v9, v22 dst_sel:DWORD dst_unused:UNUSED_PAD src0_sel:DWORD src1_sel:WORD_0
	v_fmac_f16_e32 v19, 0x3aee, v5
	v_fmac_f16_e32 v17, v13, v69
	v_fmac_f16_e32 v18, v16, v70
	v_fma_f16 v5, v30, v69, -v20
	v_fma_f16 v13, v32, v70, -v21
	v_lshrrev_b32_e32 v16, 16, v28
	ds_write2_b32 v138, v6, v7 offset1:10
	v_pack_b32_f16 v6, v23, v19
	v_add_f16_e32 v7, v17, v18
	v_add_f16_e32 v19, v5, v13
	v_add_f16_e32 v20, v16, v17
	v_sub_f16_e32 v17, v17, v18
	v_add_f16_e32 v21, v28, v5
	v_fmac_f16_e32 v16, -0.5, v7
	v_fma_f16 v7, -0.5, v19, v28
	v_sub_f16_e32 v5, v5, v13
	v_add_f16_e32 v18, v20, v18
	v_add_f16_e32 v13, v21, v13
	ds_write_b32 v138, v6 offset:80
	v_fmamk_f16 v6, v17, 0x3aee, v7
	v_fmamk_f16 v19, v5, 0xbaee, v16
	v_lshrrev_b32_e32 v20, 16, v31
	v_lshrrev_b32_e32 v21, 16, v33
	v_pack_b32_f16 v13, v13, v18
	v_mul_f16_sdwa v22, v33, v68 dst_sel:DWORD dst_unused:UNUSED_PAD src0_sel:DWORD src1_sel:WORD_1
	v_pack_b32_f16 v6, v6, v19
	v_mul_f16_sdwa v15, v20, v67 dst_sel:DWORD dst_unused:UNUSED_PAD src0_sel:DWORD src1_sel:WORD_1
	v_mul_f16_sdwa v18, v21, v68 dst_sel:DWORD dst_unused:UNUSED_PAD src0_sel:DWORD src1_sel:WORD_1
	v_mul_f16_sdwa v19, v31, v67 dst_sel:DWORD dst_unused:UNUSED_PAD src0_sel:DWORD src1_sel:WORD_1
	v_fmac_f16_e32 v22, v21, v68
	v_fmac_f16_e32 v7, 0xbaee, v17
	v_fma_f16 v12, v31, v67, -v15
	v_fma_f16 v15, v33, v68, -v18
	v_fmac_f16_e32 v19, v20, v67
	v_lshrrev_b32_e32 v17, 16, v29
	v_fmac_f16_e32 v16, 0x3aee, v5
	v_add_f16_e32 v20, v29, v12
	v_add_f16_e32 v18, v12, v15
	;; [unrolled: 1-line block ×4, first 2 shown]
	v_pack_b32_f16 v7, v7, v16
	ds_write2_b32 v141, v13, v6 offset1:10
	ds_write_b32 v141, v7 offset:80
	v_fmac_f16_e32 v29, -0.5, v18
	v_sub_f16_e32 v18, v19, v22
	v_fmac_f16_e32 v17, -0.5, v5
	v_sub_f16_e32 v5, v12, v15
	v_add_f16_e32 v12, v21, v22
	v_add_f16_e32 v15, v20, v15
	v_fmamk_f16 v16, v18, 0x3aee, v29
	v_lshrrev_b32_e32 v13, 16, v38
	v_fmamk_f16 v19, v5, 0xbaee, v17
	v_fmac_f16_e32 v29, 0xbaee, v18
	v_pack_b32_f16 v6, v15, v12
	v_lshrrev_b32_e32 v12, 16, v36
	v_mul_f16_sdwa v15, v36, v63 dst_sel:DWORD dst_unused:UNUSED_PAD src0_sel:DWORD src1_sel:WORD_1
	v_pack_b32_f16 v7, v16, v19
	v_fmac_f16_e32 v17, 0x3aee, v5
	v_mul_f16_sdwa v5, v38, v64 dst_sel:DWORD dst_unused:UNUSED_PAD src0_sel:DWORD src1_sel:WORD_1
	v_mul_f16_sdwa v16, v12, v63 dst_sel:DWORD dst_unused:UNUSED_PAD src0_sel:DWORD src1_sel:WORD_1
	;; [unrolled: 1-line block ×3, first 2 shown]
	v_mad_u16 v20, v46, 30, v47
	v_fmac_f16_e32 v15, v12, v63
	v_lshrrev_b32_e32 v12, 16, v34
	v_fmac_f16_e32 v5, v13, v64
	v_fma_f16 v13, v36, v63, -v16
	v_fma_f16 v16, v38, v64, -v18
	v_lshlrev_b32_sdwa v139, v9, v20 dst_sel:DWORD dst_unused:UNUSED_PAD src0_sel:DWORD src1_sel:WORD_0
	v_add_f16_e32 v18, v12, v15
	v_add_f16_e32 v19, v15, v5
	;; [unrolled: 1-line block ×4, first 2 shown]
	v_sub_f16_e32 v15, v15, v5
	v_add_f16_e32 v5, v18, v5
	v_fmac_f16_e32 v12, -0.5, v19
	v_add_f16_e32 v18, v20, v16
	v_fma_f16 v19, -0.5, v21, v34
	v_lshrrev_b32_e32 v20, 16, v37
	v_lshrrev_b32_e32 v21, 16, v39
	v_mul_f16_sdwa v26, v37, v65 dst_sel:DWORD dst_unused:UNUSED_PAD src0_sel:DWORD src1_sel:WORD_1
	v_mul_f16_sdwa v27, v39, v66 dst_sel:DWORD dst_unused:UNUSED_PAD src0_sel:DWORD src1_sel:WORD_1
	v_sub_f16_e32 v13, v13, v16
	v_mul_f16_sdwa v23, v20, v65 dst_sel:DWORD dst_unused:UNUSED_PAD src0_sel:DWORD src1_sel:WORD_1
	v_mul_f16_sdwa v24, v21, v66 dst_sel:DWORD dst_unused:UNUSED_PAD src0_sel:DWORD src1_sel:WORD_1
	v_fmac_f16_e32 v26, v20, v65
	v_fmac_f16_e32 v27, v21, v66
	v_fmamk_f16 v22, v15, 0x3aee, v19
	v_fma_f16 v23, v37, v65, -v23
	v_fma_f16 v24, v39, v66, -v24
	v_fmamk_f16 v25, v13, 0xbaee, v12
	v_lshrrev_b32_e32 v21, 16, v35
	v_fmac_f16_e32 v19, 0xbaee, v15
	v_add_f16_e32 v15, v26, v27
	v_add_f16_e32 v20, v23, v24
	v_pack_b32_f16 v5, v18, v5
	v_pack_b32_f16 v18, v22, v25
	v_add_f16_e32 v22, v35, v23
	v_sub_f16_e32 v25, v26, v27
	v_fmac_f16_e32 v35, -0.5, v20
	v_add_f16_e32 v20, v21, v26
	v_fmac_f16_e32 v21, -0.5, v15
	v_sub_f16_e32 v15, v23, v24
	v_mad_u16 v16, v73, 30, v74
	v_fmac_f16_e32 v12, 0x3aee, v13
	v_add_f16_e32 v13, v20, v27
	v_add_f16_e32 v20, v22, v24
	v_fmamk_f16 v22, v25, 0x3aee, v35
	v_fmamk_f16 v23, v15, 0xbaee, v21
	v_mad_u16 v24, v75, 30, v76
	v_pack_b32_f16 v17, v29, v17
	v_lshlrev_b32_sdwa v142, v9, v16 dst_sel:DWORD dst_unused:UNUSED_PAD src0_sel:DWORD src1_sel:WORD_0
	v_pack_b32_f16 v12, v19, v12
	v_pack_b32_f16 v13, v20, v13
	;; [unrolled: 1-line block ×3, first 2 shown]
	v_lshlrev_b32_sdwa v140, v9, v24 dst_sel:DWORD dst_unused:UNUSED_PAD src0_sel:DWORD src1_sel:WORD_0
	ds_write2_b32 v139, v6, v7 offset1:10
	ds_write_b32 v139, v17 offset:80
	ds_write2_b32 v142, v5, v18 offset1:10
	ds_write_b32 v142, v12 offset:80
	ds_write2_b32 v140, v13, v16 offset1:10
	v_lshrrev_b32_e32 v5, 16, v40
	v_mul_f16_sdwa v6, v40, v61 dst_sel:DWORD dst_unused:UNUSED_PAD src0_sel:DWORD src1_sel:WORD_1
	v_lshrrev_b32_e32 v7, 16, v42
	v_fmac_f16_e32 v21, 0x3aee, v15
	v_mul_f16_sdwa v12, v42, v62 dst_sel:DWORD dst_unused:UNUSED_PAD src0_sel:DWORD src1_sel:WORD_1
	v_mul_f16_sdwa v13, v5, v61 dst_sel:DWORD dst_unused:UNUSED_PAD src0_sel:DWORD src1_sel:WORD_1
	v_fmac_f16_e32 v6, v5, v61
	v_lshrrev_b32_e32 v5, 16, v0
	v_mul_f16_sdwa v15, v7, v62 dst_sel:DWORD dst_unused:UNUSED_PAD src0_sel:DWORD src1_sel:WORD_1
	v_fmac_f16_e32 v35, 0xbaee, v25
	v_fmac_f16_e32 v12, v7, v62
	v_fma_f16 v7, v40, v61, -v13
	v_add_f16_e32 v16, v5, v6
	v_fma_f16 v15, v42, v62, -v15
	v_pack_b32_f16 v13, v35, v21
	v_add_f16_e32 v17, v6, v12
	v_add_f16_e32 v18, v0, v7
	v_sub_f16_e32 v6, v6, v12
	v_add_f16_e32 v12, v16, v12
	v_add_f16_e32 v16, v7, v15
	v_fmac_f16_e32 v5, -0.5, v17
	v_add_f16_e32 v17, v18, v15
	v_sub_f16_e32 v7, v7, v15
	ds_write_b32 v140, v13 offset:80
	v_fma_f16 v0, -0.5, v16, v0
	v_lshrrev_b32_e32 v13, 16, v41
	v_lshrrev_b32_e32 v15, 16, v43
	v_pack_b32_f16 v17, v17, v12
	v_fmamk_f16 v20, v7, 0xbaee, v5
	v_fmamk_f16 v12, v6, 0x3aee, v0
	v_mul_f16_sdwa v18, v13, v55 dst_sel:DWORD dst_unused:UNUSED_PAD src0_sel:DWORD src1_sel:WORD_1
	v_mul_f16_sdwa v19, v15, v56 dst_sel:DWORD dst_unused:UNUSED_PAD src0_sel:DWORD src1_sel:WORD_1
	v_mul_f16_sdwa v21, v41, v55 dst_sel:DWORD dst_unused:UNUSED_PAD src0_sel:DWORD src1_sel:WORD_1
	v_mul_f16_sdwa v22, v43, v56 dst_sel:DWORD dst_unused:UNUSED_PAD src0_sel:DWORD src1_sel:WORD_1
	v_pack_b32_f16 v20, v12, v20
	v_fma_f16 v18, v41, v55, -v18
	v_fma_f16 v19, v43, v56, -v19
	v_mov_b32_e32 v12, 0x8889
	v_fmac_f16_e32 v21, v13, v55
	v_fmac_f16_e32 v22, v15, v56
	v_mad_u16 v16, v77, 30, v78
	v_add_f16_e32 v13, v18, v19
	v_mul_u32_u24_sdwa v12, v2, v12 dst_sel:DWORD dst_unused:UNUSED_PAD src0_sel:WORD_0 src1_sel:DWORD
	v_lshrrev_b32_e32 v15, 16, v1
	v_add_f16_e32 v23, v1, v18
	v_lshlrev_b32_sdwa v144, v9, v16 dst_sel:DWORD dst_unused:UNUSED_PAD src0_sel:DWORD src1_sel:WORD_0
	v_fmac_f16_e32 v1, -0.5, v13
	v_sub_f16_e32 v13, v21, v22
	v_lshrrev_b32_e32 v12, 20, v12
	v_add_f16_e32 v24, v21, v22
	v_add_f16_e32 v21, v15, v21
	v_sub_f16_e32 v18, v18, v19
	v_fmamk_f16 v16, v13, 0x3aee, v1
	v_fmac_f16_e32 v1, 0xbaee, v13
	v_mul_lo_u16 v13, v12, 30
	v_fmac_f16_e32 v15, -0.5, v24
	v_fmac_f16_e32 v0, 0xbaee, v6
	v_fmac_f16_e32 v5, 0x3aee, v7
	v_add_f16_e32 v6, v23, v19
	v_sub_nc_u16 v13, v2, v13
	v_fmamk_f16 v24, v18, 0xbaee, v15
	v_fmac_f16_e32 v15, 0x3aee, v18
	v_add_f16_e32 v2, v21, v22
	v_pack_b32_f16 v0, v0, v5
	v_mul_lo_u16 v4, v13, 36
	v_pack_b32_f16 v5, v16, v24
	v_pack_b32_f16 v1, v1, v15
	;; [unrolled: 1-line block ×3, first 2 shown]
	ds_write2_b32 v144, v17, v20 offset1:10
	v_and_b32_e32 v3, 0xffff, v4
	ds_write_b32 v144, v0 offset:80
	ds_write2_b32 v145, v2, v5 offset1:10
	ds_write_b32 v145, v1 offset:80
	s_waitcnt lgkmcnt(0)
	v_add_co_u32 v15, s0, s2, v3
	v_add_co_ci_u32_e64 v16, null, s3, 0, s0
	s_barrier
	buffer_gl0_inv
	s_clause 0x2
	global_load_dwordx4 v[4:7], v[15:16], off offset:80
	global_load_dwordx4 v[0:3], v[15:16], off offset:96
	global_load_dword v129, v[15:16], off offset:112
	v_mul_lo_u16 v15, v14, 30
	v_mad_u16 v12, 0x12c, v12, v13
	v_sub_nc_u16 v8, v8, v15
	v_and_b32_e32 v143, 0xff, v8
	v_mul_lo_u16 v8, 0x89, v11
	v_mad_u64_u32 v[20:21], null, v143, 36, s[2:3]
	v_lshrrev_b16 v44, 12, v8
	v_mul_lo_u16 v8, v44, 30
	s_clause 0x1
	global_load_dwordx4 v[28:31], v[20:21], off offset:80
	global_load_dwordx4 v[16:19], v[20:21], off offset:96
	v_sub_nc_u16 v8, v10, v8
	v_and_b32_e32 v45, 0xff, v8
	v_mad_u64_u32 v[10:11], null, v45, 36, s[2:3]
	s_clause 0x3
	global_load_dword v153, v[20:21], off offset:112
	global_load_dwordx4 v[20:23], v[10:11], off offset:80
	global_load_dwordx4 v[24:27], v[10:11], off offset:96
	global_load_dword v136, v[10:11], off offset:112
	ds_read2_b32 v[148:149], v122 offset0:120 offset1:220
	ds_read2_b32 v[150:151], v124 offset0:32 offset1:132
	ds_read2_b32 v[160:161], v120 offset0:80 offset1:180
	ds_read2_b32 v[162:163], v114 offset0:40 offset1:140
	ds_read2_b32 v[168:169], v104 offset0:64 offset1:164
	ds_read2_b32 v[170:171], v107 offset0:104 offset1:204
	ds_read2_b32 v[172:173], v101 offset0:152 offset1:252
	ds_read2_b32 v[174:175], v98 offset0:112 offset1:212
	ds_read2_b32 v[164:165], v126 offset0:72 offset1:172
	ds_read2_b32 v[166:167], v110 offset0:144 offset1:244
	s_waitcnt lgkmcnt(9)
	v_lshrrev_b32_e32 v8, 16, v148
	s_waitcnt lgkmcnt(8)
	v_lshrrev_b32_e32 v10, 16, v150
	;; [unrolled: 2-line block ×7, first 2 shown]
	v_lshrrev_b32_e32 v188, 16, v170
	s_waitcnt lgkmcnt(0)
	v_lshrrev_b32_e32 v184, 16, v166
	v_lshrrev_b32_e32 v196, 16, v172
	;; [unrolled: 1-line block ×3, first 2 shown]
	s_waitcnt vmcnt(8)
	v_mul_f16_sdwa v15, v148, v7 dst_sel:DWORD dst_unused:UNUSED_PAD src0_sel:DWORD src1_sel:WORD_1
	v_mul_f16_sdwa v33, v150, v5 dst_sel:DWORD dst_unused:UNUSED_PAD src0_sel:DWORD src1_sel:WORD_1
	s_waitcnt vmcnt(7)
	v_mul_f16_sdwa v34, v11, v1 dst_sel:DWORD dst_unused:UNUSED_PAD src0_sel:DWORD src1_sel:WORD_1
	v_mul_f16_sdwa v38, v162, v3 dst_sel:DWORD dst_unused:UNUSED_PAD src0_sel:DWORD src1_sel:WORD_1
	;; [unrolled: 1-line block ×3, first 2 shown]
	v_fmac_f16_e32 v15, v8, v7
	v_mul_f16_sdwa v8, v8, v7 dst_sel:DWORD dst_unused:UNUSED_PAD src0_sel:DWORD src1_sel:WORD_1
	v_fmac_f16_e32 v33, v10, v5
	v_mul_f16_sdwa v10, v10, v5 dst_sel:DWORD dst_unused:UNUSED_PAD src0_sel:DWORD src1_sel:WORD_1
	v_fma_f16 v132, v160, v1, -v34
	v_fmac_f16_e32 v38, v32, v3
	v_fma_f16 v79, v148, v7, -v8
	v_mul_f16_sdwa v8, v32, v3 dst_sel:DWORD dst_unused:UNUSED_PAD src0_sel:DWORD src1_sel:WORD_1
	v_fma_f16 v146, v150, v5, -v10
	v_lshrrev_b32_e32 v32, 16, v169
	v_mul_f16_sdwa v148, v169, v0 dst_sel:DWORD dst_unused:UNUSED_PAD src0_sel:DWORD src1_sel:WORD_1
	v_mul_f16_sdwa v150, v171, v6 dst_sel:DWORD dst_unused:UNUSED_PAD src0_sel:DWORD src1_sel:WORD_1
	v_fma_f16 v147, v162, v3, -v8
	v_add_f16_e32 v8, v79, v132
	v_fmac_f16_e32 v37, v11, v1
	v_fmac_f16_e32 v148, v32, v0
	v_mul_f16_sdwa v32, v32, v0 dst_sel:DWORD dst_unused:UNUSED_PAD src0_sel:DWORD src1_sel:WORD_1
	v_add_f16_e32 v34, v146, v147
	v_fma_f16 v10, -0.5, v8, v164
	v_lshrrev_b32_e32 v11, 16, v164
	v_add_f16_e32 v156, v164, v146
	v_lshrrev_b32_e32 v8, 16, v167
	v_fmac_f16_e32 v164, -0.5, v34
	v_mul_f16_sdwa v34, v167, v4 dst_sel:DWORD dst_unused:UNUSED_PAD src0_sel:DWORD src1_sel:WORD_1
	v_fmac_f16_e32 v150, v35, v6
	v_mul_f16_sdwa v35, v35, v6 dst_sel:DWORD dst_unused:UNUSED_PAD src0_sel:DWORD src1_sel:WORD_1
	v_mul_f16_sdwa v39, v36, v2 dst_sel:DWORD dst_unused:UNUSED_PAD src0_sel:DWORD src1_sel:WORD_1
	v_fma_f16 v154, v169, v0, -v32
	s_waitcnt vmcnt(6)
	v_mul_f16_sdwa v32, v40, v129 dst_sel:DWORD dst_unused:UNUSED_PAD src0_sel:DWORD src1_sel:WORD_1
	v_fmac_f16_e32 v34, v8, v4
	v_mul_f16_sdwa v8, v8, v4 dst_sel:DWORD dst_unused:UNUSED_PAD src0_sel:DWORD src1_sel:WORD_1
	v_mul_f16_sdwa v152, v173, v2 dst_sel:DWORD dst_unused:UNUSED_PAD src0_sel:DWORD src1_sel:WORD_1
	;; [unrolled: 1-line block ×3, first 2 shown]
	v_fma_f16 v155, v173, v2, -v39
	v_fma_f16 v158, v171, v6, -v35
	;; [unrolled: 1-line block ×3, first 2 shown]
	v_fmac_f16_e32 v152, v36, v2
	v_fma_f16 v39, v167, v4, -v8
	v_add_f16_e32 v8, v154, v155
	v_fmac_f16_e32 v80, v40, v129
	v_add_f16_e32 v35, v158, v157
	v_sub_f16_e32 v36, v154, v158
	v_sub_f16_e32 v40, v155, v157
	v_fma_f16 v32, -0.5, v8, v39
	v_add_f16_e32 v160, v39, v158
	v_fmac_f16_e32 v39, -0.5, v35
	v_add_f16_e32 v8, v148, v152
	v_add_f16_e32 v76, v36, v40
	;; [unrolled: 1-line block ×3, first 2 shown]
	v_sub_f16_e32 v40, v148, v150
	v_sub_f16_e32 v43, v152, v80
	;; [unrolled: 1-line block ×3, first 2 shown]
	v_fma_f16 v35, -0.5, v8, v34
	v_add_f16_e32 v159, v34, v150
	v_fmac_f16_e32 v34, -0.5, v36
	v_add_f16_e32 v77, v40, v43
	v_sub_f16_e32 v43, v154, v155
	v_fmamk_f16 v46, v42, 0xbb9c, v39
	v_fmac_f16_e32 v39, 0x3b9c, v42
	v_sub_f16_e32 v74, v150, v80
	v_sub_f16_e32 v40, v15, v37
	v_fmamk_f16 v73, v43, 0x3b9c, v34
	v_fmac_f16_e32 v34, 0xbb9c, v43
	v_sub_f16_e32 v75, v158, v157
	v_fmac_f16_e32 v39, 0xb8b4, v74
	v_sub_f16_e32 v41, v79, v146
	v_sub_f16_e32 v78, v132, v147
	v_fmamk_f16 v36, v40, 0xbb9c, v164
	v_fmac_f16_e32 v164, 0x3b9c, v40
	v_sub_f16_e32 v47, v33, v38
	v_fmac_f16_e32 v34, 0x38b4, v75
	v_fmac_f16_e32 v39, 0x34f2, v76
	v_lshrrev_b32_e32 v162, 16, v165
	v_add_f16_e32 v78, v41, v78
	v_fmac_f16_e32 v164, 0xb8b4, v47
	v_fmac_f16_e32 v34, 0x34f2, v77
	v_mul_f16_e32 v8, 0xb4f2, v39
	s_waitcnt vmcnt(5)
	v_mul_f16_sdwa v41, v162, v28 dst_sel:DWORD dst_unused:UNUSED_PAD src0_sel:DWORD src1_sel:WORD_1
	ds_read2_b32 v[175:176], v125 offset0:88 offset1:188
	v_fmac_f16_e32 v164, 0x34f2, v78
	v_lshrrev_b32_e32 v167, 16, v151
	v_fmac_f16_e32 v8, 0x3b9c, v34
	v_fma_f16 v171, v165, v28, -v41
	v_mul_f16_sdwa v173, v165, v28 dst_sel:DWORD dst_unused:UNUSED_PAD src0_sel:DWORD src1_sel:WORD_1
	v_lshrrev_b32_e32 v165, 16, v149
	v_lshrrev_b32_e32 v169, 16, v161
	v_add_f16_e32 v41, v164, v8
	v_mul_f16_sdwa v177, v167, v30 dst_sel:DWORD dst_unused:UNUSED_PAD src0_sel:DWORD src1_sel:WORD_1
	v_sub_f16_e32 v8, v164, v8
	s_waitcnt vmcnt(4)
	v_mul_f16_sdwa v164, v165, v16 dst_sel:DWORD dst_unused:UNUSED_PAD src0_sel:DWORD src1_sel:WORD_1
	v_fmac_f16_e32 v173, v162, v28
	v_mul_f16_sdwa v162, v169, v18 dst_sel:DWORD dst_unused:UNUSED_PAD src0_sel:DWORD src1_sel:WORD_1
	v_fma_f16 v179, v151, v30, -v177
	v_mul_f16_sdwa v181, v149, v16 dst_sel:DWORD dst_unused:UNUSED_PAD src0_sel:DWORD src1_sel:WORD_1
	v_fma_f16 v180, v149, v16, -v164
	v_lshrrev_b32_e32 v149, 16, v163
	ds_read2_b32 v[177:178], v123 offset0:48 offset1:148
	v_fma_f16 v182, v161, v18, -v162
	v_mul_f16_sdwa v183, v161, v18 dst_sel:DWORD dst_unused:UNUSED_PAD src0_sel:DWORD src1_sel:WORD_1
	s_waitcnt lgkmcnt(1)
	v_lshrrev_b32_e32 v164, 16, v175
	s_waitcnt vmcnt(3)
	v_mul_f16_sdwa v161, v149, v153 dst_sel:DWORD dst_unused:UNUSED_PAD src0_sel:DWORD src1_sel:WORD_1
	v_mul_f16_sdwa v186, v163, v153 dst_sel:DWORD dst_unused:UNUSED_PAD src0_sel:DWORD src1_sel:WORD_1
	;; [unrolled: 1-line block ×3, first 2 shown]
	v_fmac_f16_e32 v183, v169, v18
	v_lshrrev_b32_e32 v169, 16, v176
	v_fma_f16 v185, v163, v153, -v161
	v_mul_f16_sdwa v163, v164, v29 dst_sel:DWORD dst_unused:UNUSED_PAD src0_sel:DWORD src1_sel:WORD_1
	v_mul_f16_sdwa v151, v151, v30 dst_sel:DWORD dst_unused:UNUSED_PAD src0_sel:DWORD src1_sel:WORD_1
	v_fmac_f16_e32 v181, v165, v16
	s_waitcnt vmcnt(2)
	v_mul_f16_sdwa v162, v184, v20 dst_sel:DWORD dst_unused:UNUSED_PAD src0_sel:DWORD src1_sel:WORD_1
	v_mul_f16_sdwa v165, v169, v21 dst_sel:DWORD dst_unused:UNUSED_PAD src0_sel:DWORD src1_sel:WORD_1
	v_fmac_f16_e32 v187, v164, v29
	v_fma_f16 v175, v175, v29, -v163
	ds_read2_b32 v[163:164], v121 offset0:8 offset1:108
	v_fmac_f16_e32 v151, v167, v30
	v_fma_f16 v161, v166, v20, -v162
	v_mul_f16_sdwa v162, v166, v20 dst_sel:DWORD dst_unused:UNUSED_PAD src0_sel:DWORD src1_sel:WORD_1
	v_fma_f16 v189, v176, v21, -v165
	s_waitcnt lgkmcnt(1)
	v_lshrrev_b32_e32 v166, 16, v177
	v_lshrrev_b32_e32 v190, 16, v178
	v_mul_f16_sdwa v167, v188, v22 dst_sel:DWORD dst_unused:UNUSED_PAD src0_sel:DWORD src1_sel:WORD_1
	v_mul_f16_sdwa v165, v176, v21 dst_sel:DWORD dst_unused:UNUSED_PAD src0_sel:DWORD src1_sel:WORD_1
	;; [unrolled: 1-line block ×5, first 2 shown]
	v_fma_f16 v193, v170, v22, -v167
	v_mul_f16_sdwa v170, v170, v22 dst_sel:DWORD dst_unused:UNUSED_PAD src0_sel:DWORD src1_sel:WORD_1
	v_fmac_f16_e32 v176, v166, v31
	ds_read2_b32 v[166:167], v119 offset0:96 offset1:196
	v_fma_f16 v177, v177, v31, -v191
	v_fma_f16 v191, v178, v23, -v192
	v_mul_f16_sdwa v178, v178, v23 dst_sel:DWORD dst_unused:UNUSED_PAD src0_sel:DWORD src1_sel:WORD_1
	v_lshrrev_b32_e32 v192, 16, v168
	v_fmac_f16_e32 v186, v149, v153
	v_fmac_f16_e32 v162, v184, v20
	;; [unrolled: 1-line block ×3, first 2 shown]
	s_waitcnt lgkmcnt(1)
	v_lshrrev_b32_e32 v169, 16, v163
	s_waitcnt vmcnt(1)
	v_mul_f16_sdwa v149, v192, v24 dst_sel:DWORD dst_unused:UNUSED_PAD src0_sel:DWORD src1_sel:WORD_1
	v_lshrrev_b32_e32 v184, 16, v164
	v_fmac_f16_e32 v178, v190, v23
	v_mul_f16_sdwa v190, v163, v17 dst_sel:DWORD dst_unused:UNUSED_PAD src0_sel:DWORD src1_sel:WORD_1
	v_fmac_f16_e32 v170, v188, v22
	v_fma_f16 v188, v168, v24, -v149
	v_mul_f16_sdwa v149, v169, v17 dst_sel:DWORD dst_unused:UNUSED_PAD src0_sel:DWORD src1_sel:WORD_1
	v_mul_f16_sdwa v194, v184, v25 dst_sel:DWORD dst_unused:UNUSED_PAD src0_sel:DWORD src1_sel:WORD_1
	;; [unrolled: 1-line block ×3, first 2 shown]
	v_fmac_f16_e32 v190, v169, v17
	ds_read2_b32 v[168:169], v116 offset1:100
	v_fma_f16 v197, v163, v17, -v149
	v_fma_f16 v194, v164, v25, -v194
	v_mul_f16_sdwa v198, v164, v25 dst_sel:DWORD dst_unused:UNUSED_PAD src0_sel:DWORD src1_sel:WORD_1
	v_mul_f16_sdwa v149, v196, v26 dst_sel:DWORD dst_unused:UNUSED_PAD src0_sel:DWORD src1_sel:WORD_1
	s_waitcnt lgkmcnt(1)
	v_lshrrev_b32_e32 v164, 16, v167
	v_lshrrev_b32_e32 v163, 16, v166
	v_mul_f16_sdwa v200, v166, v19 dst_sel:DWORD dst_unused:UNUSED_PAD src0_sel:DWORD src1_sel:WORD_1
	v_add_f16_e32 v219, v180, v182
	v_fma_f16 v201, v172, v26, -v149
	v_mul_f16_sdwa v149, v164, v27 dst_sel:DWORD dst_unused:UNUSED_PAD src0_sel:DWORD src1_sel:WORD_1
	v_mul_f16_sdwa v172, v172, v26 dst_sel:DWORD dst_unused:UNUSED_PAD src0_sel:DWORD src1_sel:WORD_1
	v_fmac_f16_e32 v200, v163, v19
	v_mul_f16_sdwa v203, v163, v19 dst_sel:DWORD dst_unused:UNUSED_PAD src0_sel:DWORD src1_sel:WORD_1
	v_sub_f16_e32 v223, v179, v185
	v_fma_f16 v204, v167, v27, -v149
	v_add_f16_e32 v149, v191, v194
	v_fmac_f16_e32 v172, v196, v26
	v_fma_f16 v166, v166, v19, -v203
	v_sub_f16_e32 v220, v179, v180
	v_sub_f16_e32 v196, v194, v204
	s_waitcnt lgkmcnt(0)
	v_fma_f16 v163, -0.5, v149, v169
	v_sub_f16_e32 v149, v191, v189
	v_sub_f16_e32 v221, v185, v182
	v_fma_f16 v219, -0.5, v219, v171
	v_sub_f16_e32 v224, v151, v186
	v_sub_f16_e32 v225, v186, v183
	v_add_f16_e32 v196, v149, v196
	v_add_f16_e32 v149, v177, v197
	v_sub_f16_e32 v227, v180, v182
	v_fmamk_f16 v228, v224, 0x3b9c, v219
	v_sub_f16_e32 v229, v181, v183
	v_add_f16_e32 v220, v220, v221
	v_fma_f16 v203, -0.5, v149, v168
	v_add_f16_e32 v149, v181, v183
	v_add_f16_e32 v230, v175, v166
	v_fmac_f16_e32 v228, 0x38b4, v229
	v_sub_f16_e32 v231, v166, v197
	v_sub_f16_e32 v232, v187, v176
	v_fma_f16 v222, -0.5, v149, v173
	v_sub_f16_e32 v149, v151, v181
	v_fmac_f16_e32 v228, 0x34f2, v220
	v_sub_f16_e32 v233, v200, v190
	v_add_f16_e32 v236, v176, v190
	v_fmamk_f16 v226, v223, 0xbb9c, v222
	v_add_f16_e32 v221, v149, v225
	v_fma_f16 v225, -0.5, v230, v168
	v_lshrrev_b32_e32 v230, 16, v168
	v_sub_f16_e32 v149, v175, v177
	v_fmac_f16_e32 v226, 0xb8b4, v227
	v_mul_f16_e32 v235, 0xb8b4, v228
	v_add_f16_e32 v168, v168, v175
	v_add_f16_e32 v232, v232, v233
	v_add_f16_e32 v231, v149, v231
	v_fmac_f16_e32 v226, 0x34f2, v221
	v_add_f16_e32 v149, v230, v187
	v_add_f16_e32 v233, v173, v151
	v_sub_f16_e32 v237, v187, v200
	v_fma_f16 v236, -0.5, v236, v230
	v_mul_f16_e32 v234, 0x38b4, v226
	v_sub_f16_e32 v238, v175, v166
	v_add_f16_e32 v168, v168, v177
	v_add_f16_e32 v149, v149, v176
	;; [unrolled: 1-line block ×3, first 2 shown]
	v_fmac_f16_e32 v234, 0x3a79, v228
	v_add_f16_e32 v228, v171, v179
	v_fmamk_f16 v239, v237, 0x3b9c, v203
	v_sub_f16_e32 v240, v176, v190
	v_fmamk_f16 v241, v238, 0xbb9c, v236
	v_sub_f16_e32 v242, v177, v197
	v_add_f16_e32 v228, v228, v180
	v_add_f16_e32 v168, v168, v197
	;; [unrolled: 1-line block ×4, first 2 shown]
	v_fmac_f16_e32 v239, 0x38b4, v240
	v_add_f16_e32 v228, v228, v182
	v_fmac_f16_e32 v241, 0xb8b4, v242
	v_fmac_f16_e32 v235, 0x3a79, v226
	v_mov_b32_e32 v226, 0x12c
	v_add_f16_e32 v168, v168, v166
	v_add_f16_e32 v243, v149, v200
	;; [unrolled: 1-line block ×4, first 2 shown]
	v_fmac_f16_e32 v239, 0x34f2, v231
	v_fmac_f16_e32 v241, 0x34f2, v232
	v_mul_u32_u24_sdwa v14, v14, v226 dst_sel:DWORD dst_unused:UNUSED_PAD src0_sel:WORD_0 src1_sel:DWORD
	v_add_f16_e32 v244, v168, v228
	v_add_f16_e32 v245, v243, v233
	;; [unrolled: 1-line block ×4, first 2 shown]
	v_add_lshl_u32 v149, v14, v143, 2
	v_sub_f16_e32 v175, v177, v175
	v_pack_b32_f16 v14, v244, v245
	v_sub_f16_e32 v166, v197, v166
	v_pack_b32_f16 v143, v246, v247
	v_fmamk_f16 v177, v240, 0xbb9c, v225
	v_fmac_f16_e32 v225, 0x3b9c, v240
	s_waitcnt vmcnt(0)
	s_barrier
	buffer_gl0_inv
	ds_write2_b32 v149, v14, v143 offset1:30
	v_add_f16_e32 v14, v175, v166
	v_fmac_f16_e32 v177, 0x38b4, v237
	v_fmac_f16_e32 v225, 0xb8b4, v237
	v_add_f16_e32 v143, v187, v200
	v_sub_f16_e32 v166, v176, v187
	v_sub_f16_e32 v175, v190, v200
	v_fmac_f16_e32 v177, 0x34f2, v14
	v_fmac_f16_e32 v225, 0x34f2, v14
	v_fmac_f16_e32 v230, -0.5, v143
	v_add_f16_e32 v14, v151, v186
	v_add_f16_e32 v143, v166, v175
	;; [unrolled: 1-line block ×3, first 2 shown]
	v_sub_f16_e32 v175, v180, v179
	v_sub_f16_e32 v176, v182, v185
	v_fmac_f16_e32 v173, -0.5, v14
	v_sub_f16_e32 v151, v181, v151
	v_fmac_f16_e32 v171, -0.5, v166
	v_sub_f16_e32 v166, v183, v186
	v_fmamk_f16 v14, v242, 0x3b9c, v230
	v_fmamk_f16 v179, v227, 0x3b9c, v173
	v_fmac_f16_e32 v173, 0xbb9c, v227
	v_fmamk_f16 v180, v229, 0xbb9c, v171
	v_add_f16_e32 v151, v151, v166
	v_add_f16_e32 v166, v175, v176
	v_fmac_f16_e32 v179, 0xb8b4, v223
	v_fmac_f16_e32 v171, 0x3b9c, v229
	;; [unrolled: 1-line block ×10, first 2 shown]
	v_mul_f16_e32 v175, 0x3b9c, v179
	v_fmac_f16_e32 v171, 0x34f2, v166
	v_mul_f16_e32 v176, 0xbb9c, v180
	v_fmac_f16_e32 v173, 0x34f2, v151
	v_fmac_f16_e32 v219, 0xbb9c, v224
	;; [unrolled: 1-line block ×7, first 2 shown]
	v_mul_f16_e32 v143, 0xb4f2, v171
	v_mul_f16_e32 v151, 0xb4f2, v173
	v_fmac_f16_e32 v219, 0xb8b4, v229
	v_fmac_f16_e32 v222, 0x38b4, v227
	v_add_f16_e32 v166, v177, v175
	v_add_f16_e32 v179, v14, v176
	v_fmac_f16_e32 v143, 0x3b9c, v173
	v_fmac_f16_e32 v151, 0xbb9c, v171
	;; [unrolled: 1-line block ×6, first 2 shown]
	v_mul_f16_sdwa v202, v199, v136 dst_sel:DWORD dst_unused:UNUSED_PAD src0_sel:DWORD src1_sel:WORD_1
	v_fmac_f16_e32 v195, v192, v24
	v_add_f16_e32 v192, v169, v189
	v_pack_b32_f16 v166, v166, v179
	v_add_f16_e32 v171, v225, v143
	v_fmac_f16_e32 v203, 0xb8b4, v240
	v_fmac_f16_e32 v236, 0x38b4, v242
	v_mul_f16_e32 v173, 0xba79, v219
	v_mul_f16_e32 v179, 0xba79, v222
	v_add_f16_e32 v180, v230, v151
	v_mul_f16_sdwa v167, v167, v27 dst_sel:DWORD dst_unused:UNUSED_PAD src0_sel:DWORD src1_sel:WORD_1
	v_fma_f16 v202, v174, v136, -v202
	v_mul_f16_sdwa v174, v174, v136 dst_sel:DWORD dst_unused:UNUSED_PAD src0_sel:DWORD src1_sel:WORD_1
	v_fmac_f16_e32 v198, v184, v25
	v_add_f16_e32 v184, v189, v204
	v_add_f16_e32 v207, v161, v193
	v_fmac_f16_e32 v203, 0x34f2, v231
	v_fmac_f16_e32 v236, 0x34f2, v232
	;; [unrolled: 1-line block ×4, first 2 shown]
	v_pack_b32_f16 v171, v171, v180
	v_sub_f16_e32 v168, v168, v228
	v_sub_f16_e32 v180, v243, v233
	;; [unrolled: 1-line block ×8, first 2 shown]
	v_add_f16_e32 v176, v192, v191
	v_fmac_f16_e32 v167, v164, v27
	v_fmac_f16_e32 v174, v199, v136
	v_lshrrev_b32_e32 v164, 16, v169
	v_fmac_f16_e32 v169, -0.5, v184
	v_add_f16_e32 v184, v188, v201
	v_add_f16_e32 v199, v193, v202
	;; [unrolled: 1-line block ×4, first 2 shown]
	ds_write2_b32 v149, v166, v171 offset0:60 offset1:90
	v_pack_b32_f16 v168, v168, v180
	v_pack_b32_f16 v171, v183, v177
	;; [unrolled: 1-line block ×3, first 2 shown]
	v_sub_f16_e32 v175, v189, v191
	v_sub_f16_e32 v177, v204, v194
	v_pack_b32_f16 v180, v143, v151
	v_add_f16_e32 v143, v176, v194
	v_add_f16_e32 v151, v207, v188
	v_sub_f16_e32 v205, v188, v193
	v_sub_f16_e32 v206, v201, v202
	v_fma_f16 v184, -0.5, v184, v161
	v_fmac_f16_e32 v161, -0.5, v199
	v_add_f16_e32 v199, v195, v172
	v_add_f16_e32 v211, v162, v170
	v_pack_b32_f16 v166, v181, v182
	v_add_f16_e32 v175, v175, v177
	v_sub_f16_e32 v176, v165, v178
	v_sub_f16_e32 v177, v167, v198
	v_add_f16_e32 v181, v143, v204
	v_add_f16_e32 v143, v151, v201
	;; [unrolled: 1-line block ×4, first 2 shown]
	v_sub_f16_e32 v208, v195, v170
	v_sub_f16_e32 v209, v172, v174
	v_fma_f16 v199, -0.5, v199, v162
	v_sub_f16_e32 v212, v170, v174
	v_sub_f16_e32 v215, v193, v202
	v_add_f16_e32 v176, v176, v177
	v_sub_f16_e32 v151, v193, v188
	v_sub_f16_e32 v177, v202, v201
	v_add_f16_e32 v185, v143, v202
	v_add_f16_e32 v143, v211, v195
	v_sub_f16_e32 v210, v195, v172
	v_fmac_f16_e32 v162, -0.5, v206
	v_add_f16_e32 v206, v208, v209
	v_sub_f16_e32 v208, v188, v201
	v_sub_f16_e32 v170, v170, v195
	;; [unrolled: 1-line block ×3, first 2 shown]
	v_add_f16_e32 v177, v151, v177
	v_fmamk_f16 v151, v215, 0xbb9c, v199
	v_fmamk_f16 v187, v212, 0x3b9c, v184
	v_add_f16_e32 v143, v143, v172
	v_add_f16_e32 v172, v178, v198
	v_sub_f16_e32 v217, v165, v167
	v_sub_f16_e32 v182, v189, v204
	v_add_f16_e32 v170, v170, v186
	v_fmac_f16_e32 v151, 0xb8b4, v208
	v_fmac_f16_e32 v187, 0x38b4, v210
	v_add_f16_e32 v186, v164, v165
	v_fma_f16 v172, -0.5, v172, v164
	v_sub_f16_e32 v213, v178, v198
	v_sub_f16_e32 v183, v191, v194
	v_add_f16_e32 v174, v143, v174
	v_fmac_f16_e32 v151, 0x34f2, v170
	v_fmac_f16_e32 v187, 0x34f2, v177
	v_add_f16_e32 v143, v186, v178
	v_fmamk_f16 v186, v217, 0x3b9c, v163
	v_fmamk_f16 v188, v182, 0xbb9c, v172
	v_mul_f16_e32 v189, 0x38b4, v151
	v_mul_f16_e32 v190, 0xb8b4, v187
	v_add_f16_e32 v143, v143, v198
	v_fmac_f16_e32 v186, 0x38b4, v213
	v_fmac_f16_e32 v188, 0xb8b4, v183
	v_sub_f16_e32 v173, v203, v173
	v_sub_f16_e32 v179, v236, v179
	v_fmac_f16_e32 v189, 0x3a79, v187
	v_fmac_f16_e32 v190, 0x3a79, v151
	v_add_f16_e32 v187, v143, v167
	v_fmac_f16_e32 v186, 0x34f2, v175
	v_fmac_f16_e32 v188, 0x34f2, v176
	v_pack_b32_f16 v173, v173, v179
	v_add_f16_e32 v179, v165, v167
	v_mul_u32_u24_sdwa v44, v44, v226 dst_sel:DWORD dst_unused:UNUSED_PAD src0_sel:WORD_0 src1_sel:DWORD
	v_add_f16_e32 v191, v181, v185
	v_add_f16_e32 v192, v187, v174
	;; [unrolled: 1-line block ×4, first 2 shown]
	v_fmamk_f16 v209, v210, 0xbb9c, v161
	v_fmac_f16_e32 v161, 0x3b9c, v210
	v_fmamk_f16 v214, v208, 0x3b9c, v162
	v_fmac_f16_e32 v162, 0xbb9c, v208
	v_fmac_f16_e32 v164, -0.5, v179
	v_add_nc_u32_e32 v151, 0x200, v149
	v_add_lshl_u32 v143, v44, v45, 2
	v_pack_b32_f16 v44, v191, v192
	v_pack_b32_f16 v45, v193, v194
	v_fmac_f16_e32 v161, 0xb8b4, v212
	v_fmac_f16_e32 v162, 0x38b4, v215
	ds_write2_b32 v149, v166, v168 offset0:120 offset1:150
	ds_write2_b32 v149, v171, v14 offset0:180 offset1:210
	;; [unrolled: 1-line block ×3, first 2 shown]
	ds_write2_b32 v143, v44, v45 offset1:30
	v_sub_f16_e32 v14, v178, v165
	v_sub_f16_e32 v44, v198, v167
	v_fmac_f16_e32 v214, 0xb8b4, v215
	v_fmamk_f16 v45, v183, 0x3b9c, v164
	v_fmac_f16_e32 v209, 0x38b4, v212
	v_fmac_f16_e32 v164, 0xbb9c, v183
	v_fmamk_f16 v216, v213, 0xbb9c, v169
	v_fmac_f16_e32 v169, 0x3b9c, v213
	v_fmac_f16_e32 v161, 0x34f2, v205
	;; [unrolled: 1-line block ×3, first 2 shown]
	v_add_f16_e32 v14, v14, v44
	v_fmac_f16_e32 v214, 0x34f2, v206
	v_fmac_f16_e32 v45, 0xb8b4, v182
	;; [unrolled: 1-line block ×5, first 2 shown]
	v_mul_f16_e32 v218, 0xb4f2, v161
	v_fmac_f16_e32 v216, 0x38b4, v217
	v_mul_f16_e32 v44, 0x3b9c, v214
	v_fmac_f16_e32 v45, 0x34f2, v14
	;; [unrolled: 2-line block ×3, first 2 shown]
	v_fmac_f16_e32 v184, 0xbb9c, v212
	v_fmac_f16_e32 v199, 0x3b9c, v215
	v_mul_f16_e32 v14, 0xb4f2, v162
	v_add_f16_e32 v156, v156, v79
	v_fmac_f16_e32 v169, 0x34f2, v196
	v_fmac_f16_e32 v218, 0x3b9c, v162
	;; [unrolled: 1-line block ×8, first 2 shown]
	v_add_f16_e32 v156, v156, v132
	v_add_f16_e32 v160, v160, v154
	;; [unrolled: 1-line block ×3, first 2 shown]
	v_fmac_f16_e32 v163, 0xbb9c, v217
	v_fmac_f16_e32 v172, 0x3b9c, v182
	;; [unrolled: 1-line block ×4, first 2 shown]
	v_add_f16_e32 v161, v216, v44
	v_add_f16_e32 v162, v45, v165
	v_add_f16_e32 v168, v164, v14
	v_sub_f16_e32 v45, v45, v165
	v_sub_f16_e32 v14, v164, v14
	;; [unrolled: 1-line block ×4, first 2 shown]
	v_add_f16_e32 v156, v156, v147
	v_sub_f16_e32 v147, v146, v147
	v_add_f16_e32 v146, v160, v155
	v_fmac_f16_e32 v163, 0xb8b4, v213
	v_fmac_f16_e32 v172, 0x38b4, v183
	v_mul_f16_e32 v166, 0xba79, v184
	v_mul_f16_e32 v167, 0xba79, v199
	v_pack_b32_f16 v161, v161, v162
	v_pack_b32_f16 v162, v248, v168
	v_sub_f16_e32 v154, v158, v154
	v_sub_f16_e32 v155, v157, v155
	v_add_f16_e32 v157, v146, v157
	v_add_f16_e32 v146, v159, v148
	v_sub_f16_e32 v148, v150, v148
	v_sub_f16_e32 v150, v80, v152
	v_fmac_f16_e32 v163, 0x34f2, v175
	v_fmac_f16_e32 v172, 0x34f2, v176
	;; [unrolled: 1-line block ×4, first 2 shown]
	ds_write2_b32 v143, v161, v162 offset0:60 offset1:90
	v_sub_f16_e32 v161, v186, v189
	v_sub_f16_e32 v162, v188, v190
	v_add_f16_e32 v154, v154, v155
	v_fmamk_f16 v155, v75, 0xbb9c, v35
	v_fmamk_f16 v158, v74, 0x3b9c, v32
	v_add_f16_e32 v148, v148, v150
	v_add_f16_e32 v150, v15, v37
	;; [unrolled: 1-line block ×3, first 2 shown]
	v_sub_f16_e32 v44, v216, v44
	v_pack_b32_f16 v161, v161, v162
	v_sub_f16_e32 v162, v163, v166
	v_sub_f16_e32 v163, v172, v167
	v_add_f16_e32 v146, v146, v152
	v_fmac_f16_e32 v155, 0xb8b4, v43
	v_fmac_f16_e32 v158, 0x38b4, v42
	v_add_f16_e32 v152, v11, v33
	v_fma_f16 v159, -0.5, v150, v11
	v_pack_b32_f16 v44, v44, v45
	v_pack_b32_f16 v45, v162, v163
	v_add_f16_e32 v162, v164, v165
	v_sub_f16_e32 v163, v33, v15
	v_sub_f16_e32 v164, v38, v37
	;; [unrolled: 1-line block ×3, first 2 shown]
	v_add_f16_e32 v80, v146, v80
	v_fmac_f16_e32 v155, 0x34f2, v148
	v_fmac_f16_e32 v158, 0x34f2, v154
	v_add_f16_e32 v146, v152, v15
	v_fmamk_f16 v152, v47, 0x3b9c, v10
	v_fmamk_f16 v160, v147, 0xbb9c, v159
	v_add_f16_e32 v132, v163, v164
	v_mul_f16_e32 v163, 0x38b4, v155
	v_mul_f16_e32 v164, 0xb8b4, v158
	v_add_f16_e32 v146, v146, v37
	v_fmac_f16_e32 v152, 0x38b4, v40
	v_fmac_f16_e32 v160, 0xb8b4, v79
	;; [unrolled: 1-line block ×4, first 2 shown]
	v_add_f16_e32 v155, v146, v38
	v_fmac_f16_e32 v152, 0x34f2, v162
	v_fmac_f16_e32 v160, 0x34f2, v132
	v_sub_f16_e32 v168, v181, v185
	v_add_f16_e32 v171, v172, v167
	v_sub_f16_e32 v173, v187, v174
	v_add_f16_e32 v13, v156, v157
	v_add_f16_e32 v158, v155, v80
	;; [unrolled: 1-line block ×4, first 2 shown]
	v_lshlrev_b32_sdwa v146, v9, v12 dst_sel:DWORD dst_unused:UNUSED_PAD src0_sel:DWORD src1_sel:WORD_0
	v_add_f16_e32 v12, v33, v38
	v_sub_f16_e32 v169, v169, v218
	v_pack_b32_f16 v170, v170, v171
	v_pack_b32_f16 v168, v168, v173
	;; [unrolled: 1-line block ×4, first 2 shown]
	v_fmac_f16_e32 v11, -0.5, v12
	v_pack_b32_f16 v14, v169, v14
	v_add_nc_u32_e32 v150, 0x200, v143
	ds_write2_b32 v143, v170, v168 offset0:120 offset1:150
	ds_write2_b32 v143, v161, v44 offset0:180 offset1:210
	;; [unrolled: 1-line block ×3, first 2 shown]
	ds_write2_b32 v146, v9, v13 offset1:30
	v_sub_f16_e32 v9, v15, v33
	v_sub_f16_e32 v12, v37, v38
	v_fmamk_f16 v13, v79, 0x3b9c, v11
	v_fmac_f16_e32 v11, 0xbb9c, v79
	v_fmac_f16_e32 v73, 0xb8b4, v75
	;; [unrolled: 1-line block ×3, first 2 shown]
	v_add_f16_e32 v9, v9, v12
	v_fmac_f16_e32 v13, 0xb8b4, v147
	v_fmac_f16_e32 v11, 0x38b4, v147
	;; [unrolled: 1-line block ×9, first 2 shown]
	v_mul_f16_e32 v9, 0x3b9c, v73
	v_mul_f16_e32 v12, 0xbb9c, v46
	v_fmac_f16_e32 v32, 0xb8b4, v42
	v_fmac_f16_e32 v35, 0x38b4, v43
	v_fmac_f16_e32 v36, 0x34f2, v78
	v_mul_f16_e32 v14, 0xb4f2, v34
	v_fmac_f16_e32 v9, 0x34f2, v46
	v_fmac_f16_e32 v12, 0x34f2, v73
	;; [unrolled: 1-line block ×7, first 2 shown]
	v_add_f16_e32 v15, v36, v9
	v_add_f16_e32 v33, v13, v12
	v_mul_f16_e32 v34, 0xba79, v32
	v_mul_f16_e32 v37, 0xba79, v35
	v_fmac_f16_e32 v10, 0xb8b4, v40
	v_fmac_f16_e32 v159, 0x38b4, v79
	v_pack_b32_f16 v15, v15, v33
	v_fmac_f16_e32 v34, 0x38b4, v35
	v_fmac_f16_e32 v37, 0xb8b4, v32
	v_add_f16_e32 v32, v11, v14
	v_sub_f16_e32 v33, v156, v157
	v_sub_f16_e32 v35, v155, v80
	v_fmac_f16_e32 v10, 0x34f2, v162
	v_fmac_f16_e32 v159, 0x34f2, v132
	v_sub_f16_e32 v9, v36, v9
	v_sub_f16_e32 v12, v13, v12
	v_pack_b32_f16 v13, v41, v32
	v_pack_b32_f16 v35, v33, v35
	v_mad_u64_u32 v[32:33], null, v112, 36, s[2:3]
	v_add_f16_e32 v38, v10, v34
	v_add_f16_e32 v39, v159, v37
	v_sub_f16_e32 v40, v152, v163
	v_sub_f16_e32 v36, v160, v164
	v_pack_b32_f16 v9, v9, v12
	v_sub_f16_e32 v10, v10, v34
	v_sub_f16_e32 v11, v11, v14
	;; [unrolled: 1-line block ×3, first 2 shown]
	v_pack_b32_f16 v38, v38, v39
	v_pack_b32_f16 v36, v40, v36
	v_add_co_u32 v34, vcc_lo, 0x1c20, v32
	ds_write2_b32 v146, v15, v13 offset0:60 offset1:90
	ds_write2_b32 v146, v38, v35 offset0:120 offset1:150
	;; [unrolled: 1-line block ×3, first 2 shown]
	v_pack_b32_f16 v8, v8, v11
	v_pack_b32_f16 v9, v10, v12
	v_add_nc_u32_e32 v152, 0x200, v146
	v_add_co_ci_u32_e32 v35, vcc_lo, 0, v33, vcc_lo
	v_add_co_u32 v73, vcc_lo, 0xe10, v32
	ds_write2_b32 v152, v8, v9 offset0:112 offset1:142
	s_waitcnt lgkmcnt(0)
	s_barrier
	buffer_gl0_inv
	s_clause 0x5
	global_load_dwordx4 v[12:15], v[34:35], off offset:1160
	global_load_dwordx4 v[8:11], v[34:35], off offset:1176
	global_load_dword v132, v[34:35], off offset:1192
	global_load_dwordx4 v[44:47], v[32:33], off offset:1160
	global_load_dwordx4 v[36:39], v[32:33], off offset:1176
	global_load_dword v147, v[32:33], off offset:1192
	v_add_co_ci_u32_e32 v74, vcc_lo, 0, v33, vcc_lo
	s_clause 0x2
	global_load_dwordx4 v[40:43], v[73:74], off offset:1160
	global_load_dwordx4 v[32:35], v[73:74], off offset:1176
	global_load_dword v148, v[73:74], off offset:1192
	ds_read2_b32 v[180:181], v122 offset0:120 offset1:220
	ds_read2_b32 v[183:184], v124 offset0:32 offset1:132
	;; [unrolled: 1-line block ×10, first 2 shown]
	s_mov_b32 s2, 0xc3ece2a5
	s_mov_b32 s3, 0x3f35d867
	s_waitcnt lgkmcnt(9)
	v_lshrrev_b32_e32 v73, 16, v180
	s_waitcnt lgkmcnt(8)
	v_lshrrev_b32_e32 v74, 16, v183
	;; [unrolled: 2-line block ×9, first 2 shown]
	v_lshrrev_b32_e32 v203, 16, v186
	s_waitcnt lgkmcnt(0)
	v_lshrrev_b32_e32 v182, 16, v193
	v_lshrrev_b32_e32 v220, 16, v194
	;; [unrolled: 1-line block ×3, first 2 shown]
	s_waitcnt vmcnt(8)
	v_mul_f16_sdwa v75, v180, v15 dst_sel:DWORD dst_unused:UNUSED_PAD src0_sel:DWORD src1_sel:WORD_1
	v_mul_f16_sdwa v171, v183, v13 dst_sel:DWORD dst_unused:UNUSED_PAD src0_sel:DWORD src1_sel:WORD_1
	;; [unrolled: 1-line block ×3, first 2 shown]
	s_waitcnt vmcnt(7)
	v_mul_f16_sdwa v77, v185, v9 dst_sel:DWORD dst_unused:UNUSED_PAD src0_sel:DWORD src1_sel:WORD_1
	v_mul_f16_sdwa v168, v191, v12 dst_sel:DWORD dst_unused:UNUSED_PAD src0_sel:DWORD src1_sel:WORD_1
	v_fmac_f16_e32 v75, v73, v15
	v_fmac_f16_e32 v171, v74, v13
	v_mul_f16_sdwa v73, v74, v13 dst_sel:DWORD dst_unused:UNUSED_PAD src0_sel:DWORD src1_sel:WORD_1
	v_mul_f16_sdwa v74, v154, v9 dst_sel:DWORD dst_unused:UNUSED_PAD src0_sel:DWORD src1_sel:WORD_1
	v_fma_f16 v80, v180, v15, -v76
	v_mul_f16_sdwa v76, v188, v11 dst_sel:DWORD dst_unused:UNUSED_PAD src0_sel:DWORD src1_sel:WORD_1
	v_fmac_f16_e32 v77, v154, v9
	v_mul_f16_sdwa v159, v157, v12 dst_sel:DWORD dst_unused:UNUSED_PAD src0_sel:DWORD src1_sel:WORD_1
	v_fma_f16 v78, v185, v9, -v74
	v_mul_f16_sdwa v74, v155, v11 dst_sel:DWORD dst_unused:UNUSED_PAD src0_sel:DWORD src1_sel:WORD_1
	v_fma_f16 v185, v183, v13, -v73
	v_fmac_f16_e32 v76, v155, v11
	v_mul_f16_sdwa v155, v195, v8 dst_sel:DWORD dst_unused:UNUSED_PAD src0_sel:DWORD src1_sel:WORD_1
	v_add_f16_e32 v73, v80, v78
	v_fma_f16 v79, v188, v11, -v74
	v_lshrrev_b32_e32 v74, 16, v192
	v_add_f16_e32 v154, v192, v185
	v_fmac_f16_e32 v155, v158, v8
	v_fma_f16 v73, -0.5, v73, v192
	v_add_f16_e32 v156, v185, v79
	v_mul_f16_sdwa v165, v163, v14 dst_sel:DWORD dst_unused:UNUSED_PAD src0_sel:DWORD src1_sel:WORD_1
	s_waitcnt vmcnt(6)
	v_mul_f16_sdwa v166, v164, v132 dst_sel:DWORD dst_unused:UNUSED_PAD src0_sel:DWORD src1_sel:WORD_1
	v_fmac_f16_e32 v168, v157, v12
	v_mul_f16_sdwa v188, v199, v14 dst_sel:DWORD dst_unused:UNUSED_PAD src0_sel:DWORD src1_sel:WORD_1
	v_fmac_f16_e32 v192, -0.5, v156
	v_mul_f16_sdwa v156, v158, v8 dst_sel:DWORD dst_unused:UNUSED_PAD src0_sel:DWORD src1_sel:WORD_1
	v_mul_f16_sdwa v158, v162, v10 dst_sel:DWORD dst_unused:UNUSED_PAD src0_sel:DWORD src1_sel:WORD_1
	;; [unrolled: 1-line block ×3, first 2 shown]
	v_fma_f16 v172, v191, v12, -v159
	v_fma_f16 v191, v199, v14, -v165
	;; [unrolled: 1-line block ×4, first 2 shown]
	v_mul_f16_sdwa v156, v201, v132 dst_sel:DWORD dst_unused:UNUSED_PAD src0_sel:DWORD src1_sel:WORD_1
	v_fma_f16 v159, v201, v132, -v166
	v_fmac_f16_e32 v188, v163, v14
	v_fmac_f16_e32 v157, v162, v10
	v_add_f16_e32 v165, v161, v158
	v_fmac_f16_e32 v156, v164, v132
	v_add_f16_e32 v162, v191, v159
	v_sub_f16_e32 v166, v158, v159
	v_add_f16_e32 v167, v155, v157
	v_fma_f16 v164, -0.5, v165, v172
	v_sub_f16_e32 v165, v161, v191
	v_add_f16_e32 v163, v172, v191
	v_add_f16_e32 v169, v188, v156
	v_fmac_f16_e32 v172, -0.5, v162
	v_sub_f16_e32 v170, v155, v157
	v_add_f16_e32 v178, v165, v166
	v_fma_f16 v166, -0.5, v167, v168
	v_add_f16_e32 v165, v168, v188
	v_sub_f16_e32 v162, v155, v188
	v_sub_f16_e32 v173, v157, v156
	v_fmac_f16_e32 v168, -0.5, v169
	v_sub_f16_e32 v169, v161, v158
	v_fmamk_f16 v179, v170, 0xbb9c, v172
	v_fmac_f16_e32 v172, 0x3b9c, v170
	v_sub_f16_e32 v174, v188, v156
	v_lshrrev_b32_e32 v195, 16, v184
	v_sub_f16_e32 v167, v75, v77
	v_add_f16_e32 v180, v162, v173
	v_fmamk_f16 v177, v169, 0x3b9c, v168
	v_fmac_f16_e32 v168, 0xbb9c, v169
	v_sub_f16_e32 v173, v191, v159
	v_fmac_f16_e32 v172, 0xb8b4, v174
	s_waitcnt vmcnt(5)
	v_mul_f16_sdwa v187, v195, v46 dst_sel:DWORD dst_unused:UNUSED_PAD src0_sel:DWORD src1_sel:WORD_1
	ds_read2_b32 v[201:202], v125 offset0:88 offset1:188
	v_sub_f16_e32 v160, v80, v185
	v_sub_f16_e32 v176, v78, v79
	v_fmamk_f16 v162, v167, 0xbb9c, v192
	v_fmac_f16_e32 v192, 0x3b9c, v167
	v_sub_f16_e32 v175, v171, v76
	v_fmac_f16_e32 v168, 0x38b4, v173
	v_fmac_f16_e32 v172, 0x34f2, v178
	v_fma_f16 v206, v184, v46, -v187
	s_waitcnt vmcnt(4)
	v_mul_f16_sdwa v187, v203, v38 dst_sel:DWORD dst_unused:UNUSED_PAD src0_sel:DWORD src1_sel:WORD_1
	v_add_f16_e32 v183, v160, v176
	v_fmac_f16_e32 v192, 0xb8b4, v175
	v_fmac_f16_e32 v168, 0x34f2, v180
	v_mul_f16_e32 v160, 0xb4f2, v172
	v_fma_f16 v210, v186, v38, -v187
	v_mul_f16_sdwa v211, v186, v38 dst_sel:DWORD dst_unused:UNUSED_PAD src0_sel:DWORD src1_sel:WORD_1
	ds_read2_b32 v[186:187], v123 offset0:48 offset1:148
	v_fmac_f16_e32 v192, 0x34f2, v183
	v_mul_f16_sdwa v176, v182, v44 dst_sel:DWORD dst_unused:UNUSED_PAD src0_sel:DWORD src1_sel:WORD_1
	v_fmac_f16_e32 v160, 0x3b9c, v168
	v_lshrrev_b32_e32 v197, 16, v181
	v_mul_f16_sdwa v207, v184, v46 dst_sel:DWORD dst_unused:UNUSED_PAD src0_sel:DWORD src1_sel:WORD_1
	v_mul_f16_sdwa v209, v181, v36 dst_sel:DWORD dst_unused:UNUSED_PAD src0_sel:DWORD src1_sel:WORD_1
	v_fma_f16 v199, v193, v44, -v176
	v_add_f16_e32 v176, v192, v160
	v_sub_f16_e32 v160, v192, v160
	v_mul_f16_sdwa v192, v197, v36 dst_sel:DWORD dst_unused:UNUSED_PAD src0_sel:DWORD src1_sel:WORD_1
	v_lshrrev_b32_e32 v184, 16, v189
	v_fmac_f16_e32 v207, v195, v46
	s_waitcnt lgkmcnt(1)
	v_lshrrev_b32_e32 v195, 16, v202
	v_mul_f16_sdwa v205, v193, v44 dst_sel:DWORD dst_unused:UNUSED_PAD src0_sel:DWORD src1_sel:WORD_1
	v_fma_f16 v208, v181, v36, -v192
	s_waitcnt vmcnt(3)
	v_mul_f16_sdwa v181, v184, v147 dst_sel:DWORD dst_unused:UNUSED_PAD src0_sel:DWORD src1_sel:WORD_1
	v_lshrrev_b32_e32 v192, 16, v190
	v_fmac_f16_e32 v209, v197, v36
	v_lshrrev_b32_e32 v193, 16, v201
	v_mul_f16_sdwa v214, v201, v45 dst_sel:DWORD dst_unused:UNUSED_PAD src0_sel:DWORD src1_sel:WORD_1
	s_waitcnt vmcnt(2)
	v_mul_f16_sdwa v197, v195, v41 dst_sel:DWORD dst_unused:UNUSED_PAD src0_sel:DWORD src1_sel:WORD_1
	v_fmac_f16_e32 v211, v203, v38
	v_fma_f16 v212, v189, v147, -v181
	v_mul_f16_sdwa v181, v192, v40 dst_sel:DWORD dst_unused:UNUSED_PAD src0_sel:DWORD src1_sel:WORD_1
	v_mul_f16_sdwa v213, v189, v147 dst_sel:DWORD dst_unused:UNUSED_PAD src0_sel:DWORD src1_sel:WORD_1
	;; [unrolled: 1-line block ×3, first 2 shown]
	v_fmac_f16_e32 v214, v193, v45
	v_fma_f16 v215, v202, v41, -v197
	s_waitcnt lgkmcnt(0)
	v_lshrrev_b32_e32 v193, 16, v186
	ds_read2_b32 v[203:204], v121 offset0:8 offset1:108
	v_lshrrev_b32_e32 v197, 16, v187
	v_fmac_f16_e32 v205, v182, v44
	v_fma_f16 v181, v190, v40, -v181
	v_mul_f16_sdwa v182, v190, v40 dst_sel:DWORD dst_unused:UNUSED_PAD src0_sel:DWORD src1_sel:WORD_1
	v_mul_f16_sdwa v190, v202, v41 dst_sel:DWORD dst_unused:UNUSED_PAD src0_sel:DWORD src1_sel:WORD_1
	;; [unrolled: 1-line block ×5, first 2 shown]
	v_fma_f16 v201, v201, v45, -v189
	v_lshrrev_b32_e32 v189, 16, v198
	v_fmac_f16_e32 v202, v193, v47
	v_fma_f16 v217, v186, v47, -v217
	v_fma_f16 v218, v187, v43, -v218
	v_mul_f16_sdwa v193, v187, v43 dst_sel:DWORD dst_unused:UNUSED_PAD src0_sel:DWORD src1_sel:WORD_1
	ds_read2_b32 v[186:187], v119 offset0:96 offset1:196
	v_mul_f16_sdwa v219, v198, v42 dst_sel:DWORD dst_unused:UNUSED_PAD src0_sel:DWORD src1_sel:WORD_1
	v_mul_f16_sdwa v216, v189, v42 dst_sel:DWORD dst_unused:UNUSED_PAD src0_sel:DWORD src1_sel:WORD_1
	v_fmac_f16_e32 v213, v184, v147
	s_waitcnt vmcnt(1)
	v_mul_f16_sdwa v184, v220, v32 dst_sel:DWORD dst_unused:UNUSED_PAD src0_sel:DWORD src1_sel:WORD_1
	v_fmac_f16_e32 v182, v192, v40
	v_fmac_f16_e32 v219, v189, v42
	s_waitcnt lgkmcnt(1)
	v_lshrrev_b32_e32 v189, 16, v203
	v_fma_f16 v216, v198, v42, -v216
	v_lshrrev_b32_e32 v192, 16, v204
	v_fmac_f16_e32 v193, v197, v43
	v_fma_f16 v221, v194, v32, -v184
	v_mul_f16_sdwa v222, v203, v37 dst_sel:DWORD dst_unused:UNUSED_PAD src0_sel:DWORD src1_sel:WORD_1
	v_mul_f16_sdwa v184, v189, v37 dst_sel:DWORD dst_unused:UNUSED_PAD src0_sel:DWORD src1_sel:WORD_1
	ds_read2_b32 v[197:198], v116 offset1:100
	v_fmac_f16_e32 v190, v195, v41
	v_mul_f16_sdwa v195, v192, v33 dst_sel:DWORD dst_unused:UNUSED_PAD src0_sel:DWORD src1_sel:WORD_1
	v_fmac_f16_e32 v222, v189, v37
	v_fma_f16 v203, v203, v37, -v184
	v_mul_f16_sdwa v184, v223, v34 dst_sel:DWORD dst_unused:UNUSED_PAD src0_sel:DWORD src1_sel:WORD_1
	s_waitcnt lgkmcnt(1)
	v_lshrrev_b32_e32 v189, 16, v186
	v_mul_f16_sdwa v224, v194, v32 dst_sel:DWORD dst_unused:UNUSED_PAD src0_sel:DWORD src1_sel:WORD_1
	v_fma_f16 v225, v204, v33, -v195
	v_mul_f16_sdwa v195, v204, v33 dst_sel:DWORD dst_unused:UNUSED_PAD src0_sel:DWORD src1_sel:WORD_1
	v_lshrrev_b32_e32 v194, 16, v187
	v_fma_f16 v204, v196, v34, -v184
	v_lshrrev_b32_e32 v184, 16, v200
	v_mul_f16_sdwa v226, v186, v39 dst_sel:DWORD dst_unused:UNUSED_PAD src0_sel:DWORD src1_sel:WORD_1
	v_mul_f16_sdwa v227, v189, v39 dst_sel:DWORD dst_unused:UNUSED_PAD src0_sel:DWORD src1_sel:WORD_1
	;; [unrolled: 1-line block ×4, first 2 shown]
	s_waitcnt vmcnt(0)
	v_mul_f16_sdwa v229, v184, v148 dst_sel:DWORD dst_unused:UNUSED_PAD src0_sel:DWORD src1_sel:WORD_1
	v_fmac_f16_e32 v226, v189, v39
	v_fma_f16 v227, v186, v39, -v227
	v_add_f16_e32 v186, v217, v203
	v_fma_f16 v228, v187, v35, -v228
	v_mul_f16_sdwa v230, v187, v35 dst_sel:DWORD dst_unused:UNUSED_PAD src0_sel:DWORD src1_sel:WORD_1
	v_fma_f16 v229, v200, v148, -v229
	v_mul_f16_sdwa v200, v200, v148 dst_sel:DWORD dst_unused:UNUSED_PAD src0_sel:DWORD src1_sel:WORD_1
	v_fmac_f16_e32 v224, v220, v32
	v_fmac_f16_e32 v195, v192, v33
	s_waitcnt lgkmcnt(0)
	v_fma_f16 v220, -0.5, v186, v197
	v_sub_f16_e32 v189, v214, v226
	v_sub_f16_e32 v186, v201, v217
	;; [unrolled: 1-line block ×3, first 2 shown]
	v_add_f16_e32 v192, v201, v227
	v_fmac_f16_e32 v196, v223, v34
	v_fmac_f16_e32 v230, v194, v35
	v_fmamk_f16 v223, v189, 0x3b9c, v220
	v_sub_f16_e32 v194, v202, v222
	v_fmac_f16_e32 v220, 0xbb9c, v189
	v_fmac_f16_e32 v200, v184, v148
	v_fma_f16 v231, -0.5, v192, v197
	v_add_f16_e32 v232, v186, v187
	v_add_f16_e32 v184, v218, v225
	;; [unrolled: 1-line block ×3, first 2 shown]
	v_fmac_f16_e32 v223, 0x38b4, v194
	v_fmac_f16_e32 v220, 0xb8b4, v194
	v_fmamk_f16 v233, v194, 0xbb9c, v231
	v_fmac_f16_e32 v231, 0x3b9c, v194
	v_fma_f16 v184, -0.5, v184, v198
	v_lshrrev_b32_e32 v186, 16, v198
	v_add_f16_e32 v235, v198, v215
	v_fmac_f16_e32 v198, -0.5, v187
	v_add_f16_e32 v187, v221, v204
	v_add_f16_e32 v194, v216, v229
	v_sub_f16_e32 v238, v221, v216
	v_sub_f16_e32 v239, v204, v229
	v_add_f16_e32 v240, v181, v216
	v_fma_f16 v192, -0.5, v187, v181
	v_fmac_f16_e32 v181, -0.5, v194
	v_add_f16_e32 v187, v224, v196
	v_add_f16_e32 v238, v238, v239
	;; [unrolled: 1-line block ×3, first 2 shown]
	v_sub_f16_e32 v241, v224, v219
	v_sub_f16_e32 v242, v196, v200
	;; [unrolled: 1-line block ×3, first 2 shown]
	v_fma_f16 v194, -0.5, v187, v182
	v_add_f16_e32 v244, v182, v219
	v_fmac_f16_e32 v182, -0.5, v239
	v_add_f16_e32 v239, v241, v242
	v_sub_f16_e32 v241, v221, v204
	v_fmamk_f16 v242, v243, 0xbb9c, v181
	v_fmac_f16_e32 v181, 0x3b9c, v243
	v_sub_f16_e32 v245, v219, v200
	v_sub_f16_e32 v246, v193, v195
	v_fmamk_f16 v247, v241, 0x3b9c, v182
	v_fmac_f16_e32 v182, 0xbb9c, v241
	v_sub_f16_e32 v248, v216, v229
	v_fmac_f16_e32 v181, 0xb8b4, v245
	v_sub_f16_e32 v234, v217, v201
	v_sub_f16_e32 v236, v218, v215
	;; [unrolled: 1-line block ×3, first 2 shown]
	v_fmamk_f16 v187, v246, 0xbb9c, v198
	v_fmac_f16_e32 v198, 0x3b9c, v246
	v_sub_f16_e32 v249, v190, v230
	v_fmac_f16_e32 v182, 0x38b4, v248
	v_fmac_f16_e32 v181, 0x34f2, v238
	v_sub_f16_e32 v250, v203, v227
	v_add_f16_e32 v236, v236, v237
	v_fmac_f16_e32 v198, 0xb8b4, v249
	v_fmac_f16_e32 v182, 0x34f2, v239
	v_mul_f16_e32 v237, 0xb4f2, v181
	v_add_f16_e32 v234, v234, v250
	v_add_f16_e32 v250, v197, v201
	v_fmac_f16_e32 v198, 0x34f2, v236
	v_fmac_f16_e32 v233, 0x38b4, v189
	;; [unrolled: 1-line block ×4, first 2 shown]
	v_add_f16_e32 v250, v250, v217
	v_lshrrev_b32_e32 v197, 16, v197
	v_fmac_f16_e32 v223, 0x34f2, v232
	v_add_f16_e32 v251, v198, v237
	v_sub_f16_e32 v189, v198, v237
	v_add_f16_e32 v198, v250, v203
	v_fmac_f16_e32 v220, 0x34f2, v232
	v_fmac_f16_e32 v233, 0x34f2, v234
	;; [unrolled: 1-line block ×3, first 2 shown]
	v_add_f16_e32 v232, v197, v214
	v_add_f16_e32 v234, v202, v222
	;; [unrolled: 1-line block ×3, first 2 shown]
	v_sub_f16_e32 v201, v201, v227
	v_sub_f16_e32 v227, v214, v202
	;; [unrolled: 1-line block ×3, first 2 shown]
	v_add_f16_e32 v232, v232, v202
	v_fma_f16 v234, -0.5, v234, v197
	v_sub_f16_e32 v203, v217, v203
	v_add_f16_e32 v217, v214, v226
	v_add_f16_e32 v227, v227, v237
	;; [unrolled: 1-line block ×3, first 2 shown]
	v_fmamk_f16 v237, v201, 0xbb9c, v234
	v_fmac_f16_e32 v234, 0x3b9c, v201
	v_fmac_f16_e32 v197, -0.5, v217
	v_sub_f16_e32 v202, v202, v214
	v_sub_f16_e32 v217, v222, v226
	v_add_f16_e32 v214, v232, v226
	v_fmac_f16_e32 v237, 0xb8b4, v203
	v_fmac_f16_e32 v234, 0x38b4, v203
	v_fmamk_f16 v222, v203, 0x3b9c, v197
	v_fmac_f16_e32 v197, 0xbb9c, v203
	v_add_f16_e32 v203, v208, v210
	v_add_f16_e32 v202, v202, v217
	v_sub_f16_e32 v217, v206, v208
	v_sub_f16_e32 v226, v212, v210
	v_fmac_f16_e32 v237, 0x34f2, v227
	v_fmac_f16_e32 v234, 0x34f2, v227
	;; [unrolled: 1-line block ×3, first 2 shown]
	v_fma_f16 v203, -0.5, v203, v199
	v_add_f16_e32 v227, v206, v212
	v_sub_f16_e32 v232, v207, v213
	v_fmac_f16_e32 v197, 0x38b4, v201
	v_add_f16_e32 v201, v217, v226
	v_add_f16_e32 v217, v199, v206
	v_fmac_f16_e32 v199, -0.5, v227
	v_fmamk_f16 v226, v232, 0x3b9c, v203
	v_sub_f16_e32 v227, v209, v211
	v_fmac_f16_e32 v203, 0xbb9c, v232
	v_add_f16_e32 v217, v217, v208
	v_sub_f16_e32 v252, v210, v212
	v_fmac_f16_e32 v222, 0x34f2, v202
	v_fmac_f16_e32 v226, 0x38b4, v227
	;; [unrolled: 1-line block ×3, first 2 shown]
	v_fmamk_f16 v250, v227, 0xbb9c, v199
	v_fmac_f16_e32 v199, 0x3b9c, v227
	v_sub_f16_e32 v227, v208, v206
	v_fmac_f16_e32 v197, 0x34f2, v202
	v_add_f16_e32 v202, v217, v210
	v_fmac_f16_e32 v250, 0x38b4, v232
	v_fmac_f16_e32 v199, 0xb8b4, v232
	v_add_f16_e32 v227, v227, v252
	v_fmac_f16_e32 v226, 0x34f2, v201
	v_fmac_f16_e32 v203, 0x34f2, v201
	v_add_f16_e32 v201, v202, v212
	v_sub_f16_e32 v202, v206, v212
	v_sub_f16_e32 v206, v208, v210
	v_add_f16_e32 v210, v209, v211
	v_add_f16_e32 v217, v207, v213
	v_fmac_f16_e32 v250, 0x34f2, v227
	v_fmac_f16_e32 v199, 0x34f2, v227
	v_sub_f16_e32 v208, v207, v209
	v_sub_f16_e32 v212, v213, v211
	v_add_f16_e32 v227, v205, v207
	v_fma_f16 v210, -0.5, v210, v205
	v_fmac_f16_e32 v205, -0.5, v217
	v_sub_f16_e32 v207, v209, v207
	v_add_f16_e32 v208, v208, v212
	v_add_f16_e32 v212, v227, v209
	v_fmamk_f16 v209, v202, 0xbb9c, v210
	v_sub_f16_e32 v217, v211, v213
	v_fmamk_f16 v227, v206, 0x3b9c, v205
	v_fmac_f16_e32 v205, 0xbb9c, v206
	v_fmac_f16_e32 v210, 0x3b9c, v202
	;; [unrolled: 1-line block ×3, first 2 shown]
	v_add_f16_e32 v207, v207, v217
	v_fmac_f16_e32 v227, 0xb8b4, v202
	v_fmac_f16_e32 v205, 0x38b4, v202
	;; [unrolled: 1-line block ×3, first 2 shown]
	v_add_f16_e32 v211, v212, v211
	v_fmac_f16_e32 v209, 0x34f2, v208
	v_fmac_f16_e32 v227, 0x34f2, v207
	v_mul_f16_e32 v206, 0xb8b4, v226
	v_fmac_f16_e32 v205, 0x34f2, v207
	v_fmac_f16_e32 v210, 0x34f2, v208
	v_add_f16_e32 v211, v211, v213
	v_mul_f16_e32 v202, 0x38b4, v209
	v_mul_f16_e32 v212, 0x3b9c, v227
	v_mul_f16_e32 v213, 0xba79, v203
	v_mul_f16_e32 v207, 0xbb9c, v250
	v_fmac_f16_e32 v206, 0x3a79, v209
	v_mul_f16_e32 v208, 0xb4f2, v199
	v_mul_f16_e32 v209, 0xb4f2, v205
	;; [unrolled: 1-line block ×3, first 2 shown]
	v_fmac_f16_e32 v202, 0x3a79, v226
	v_fmac_f16_e32 v212, 0x34f2, v250
	;; [unrolled: 1-line block ×7, first 2 shown]
	v_add_f16_e32 v199, v198, v201
	v_sub_f16_e32 v198, v198, v201
	v_add_f16_e32 v201, v223, v202
	v_add_f16_e32 v203, v233, v212
	v_sub_f16_e32 v205, v233, v212
	v_add_f16_e32 v212, v220, v213
	v_sub_f16_e32 v213, v220, v213
	;; [unrolled: 2-line block ×4, first 2 shown]
	v_add_f16_e32 v223, v222, v207
	v_add_f16_e32 v210, v231, v208
	v_sub_f16_e32 v207, v222, v207
	v_add_f16_e32 v222, v197, v209
	v_sub_f16_e32 v197, v197, v209
	;; [unrolled: 2-line block ×3, first 2 shown]
	v_pack_b32_f16 v201, v201, v214
	v_pack_b32_f16 v198, v198, v211
	;; [unrolled: 1-line block ×5, first 2 shown]
	ds_write_b32 v116, v201 offset:1200
	ds_write_b32 v116, v203 offset:2400
	;; [unrolled: 1-line block ×5, first 2 shown]
	v_pack_b32_f16 v198, v202, v206
	v_add_f16_e32 v206, v244, v224
	v_sub_f16_e32 v208, v231, v208
	v_pack_b32_f16 v202, v205, v207
	v_add_f16_e32 v205, v240, v221
	v_sub_f16_e32 v209, v219, v224
	v_add_f16_e32 v206, v206, v196
	v_pack_b32_f16 v197, v208, v197
	v_sub_f16_e32 v208, v216, v221
	v_add_f16_e32 v205, v205, v204
	v_sub_f16_e32 v204, v229, v204
	v_add_f16_e32 v206, v206, v200
	v_sub_f16_e32 v196, v200, v196
	v_fmamk_f16 v200, v248, 0xbb9c, v194
	v_fmamk_f16 v210, v245, 0x3b9c, v192
	v_add_f16_e32 v204, v208, v204
	v_sub_f16_e32 v217, v234, v217
	v_add_f16_e32 v196, v209, v196
	v_fmac_f16_e32 v200, 0xb8b4, v241
	v_fmac_f16_e32 v210, 0x38b4, v243
	v_sub_f16_e32 v211, v215, v218
	v_sub_f16_e32 v208, v228, v225
	v_pack_b32_f16 v207, v213, v217
	v_fmac_f16_e32 v200, 0x34f2, v196
	v_fmac_f16_e32 v210, 0x34f2, v204
	v_sub_f16_e32 v213, v230, v195
	v_add_f16_e32 v208, v211, v208
	v_sub_f16_e32 v211, v190, v193
	v_mul_f16_e32 v214, 0x38b4, v200
	v_mul_f16_e32 v216, 0xb8b4, v210
	v_add_f16_e32 v203, v235, v218
	v_sub_f16_e32 v217, v218, v225
	v_add_f16_e32 v211, v211, v213
	v_fmac_f16_e32 v214, 0x3a79, v210
	v_fmac_f16_e32 v216, 0x3a79, v200
	v_sub_f16_e32 v200, v185, v80
	v_sub_f16_e32 v188, v188, v155
	;; [unrolled: 1-line block ×4, first 2 shown]
	v_fmamk_f16 v218, v173, 0xbb9c, v166
	v_sub_f16_e32 v191, v191, v161
	v_sub_f16_e32 v219, v159, v158
	v_pack_b32_f16 v199, v199, v220
	v_add_f16_e32 v201, v186, v190
	v_add_f16_e32 v188, v188, v210
	v_fmamk_f16 v210, v174, 0x3b9c, v164
	v_fmac_f16_e32 v218, 0xb8b4, v169
	v_add_f16_e32 v200, v200, v213
	v_sub_f16_e32 v213, v171, v75
	v_add_f16_e32 v191, v191, v219
	v_sub_f16_e32 v219, v76, v77
	v_add_f16_e32 v220, v193, v195
	v_add_f16_e32 v221, v75, v77
	;; [unrolled: 1-line block ×3, first 2 shown]
	v_sub_f16_e32 v215, v215, v228
	v_fmac_f16_e32 v210, 0x38b4, v170
	v_fmac_f16_e32 v218, 0x34f2, v188
	v_add_f16_e32 v213, v213, v219
	v_fma_f16 v219, -0.5, v220, v186
	v_fma_f16 v220, -0.5, v221, v74
	v_sub_f16_e32 v185, v185, v79
	v_add_f16_e32 v203, v203, v225
	v_add_f16_e32 v201, v201, v195
	v_fmac_f16_e32 v210, 0x34f2, v191
	v_mul_f16_e32 v222, 0x38b4, v218
	v_fmamk_f16 v221, v249, 0x3b9c, v184
	v_fmamk_f16 v223, v215, 0xbb9c, v219
	;; [unrolled: 1-line block ×4, first 2 shown]
	v_sub_f16_e32 v226, v80, v78
	v_fmac_f16_e32 v162, 0x38b4, v175
	v_fmac_f16_e32 v177, 0xb8b4, v173
	v_add_f16_e32 v203, v203, v228
	v_add_f16_e32 v201, v201, v230
	;; [unrolled: 1-line block ×3, first 2 shown]
	v_fmac_f16_e32 v222, 0x3a79, v210
	v_mul_f16_e32 v210, 0xb8b4, v210
	v_fmac_f16_e32 v221, 0x38b4, v246
	v_fmac_f16_e32 v223, 0xb8b4, v217
	v_fmac_f16_e32 v224, 0x38b4, v167
	v_fmac_f16_e32 v225, 0xb8b4, v226
	v_sub_f16_e32 v193, v193, v190
	v_add_f16_e32 v190, v190, v230
	v_sub_f16_e32 v195, v195, v230
	v_fmac_f16_e32 v162, 0x34f2, v183
	v_add_f16_e32 v183, v171, v76
	v_fmac_f16_e32 v179, 0x38b4, v174
	v_fmac_f16_e32 v177, 0x34f2, v180
	v_add_f16_e32 v209, v203, v205
	v_add_f16_e32 v212, v201, v206
	v_fmac_f16_e32 v210, 0x3a79, v218
	v_fmac_f16_e32 v221, 0x34f2, v208
	;; [unrolled: 1-line block ×7, first 2 shown]
	v_fmac_f16_e32 v186, -0.5, v190
	v_add_f16_e32 v190, v193, v195
	v_add_f16_e32 v193, v74, v171
	v_fmac_f16_e32 v179, 0x34f2, v178
	v_mul_f16_e32 v178, 0x3b9c, v177
	v_fmac_f16_e32 v74, -0.5, v183
	v_fmac_f16_e32 v192, 0xbb9c, v245
	v_fmac_f16_e32 v194, 0x3b9c, v248
	v_pack_b32_f16 v209, v209, v212
	v_add_f16_e32 v212, v221, v214
	v_add_f16_e32 v218, v223, v216
	;; [unrolled: 1-line block ×4, first 2 shown]
	v_fmac_f16_e32 v247, 0xb8b4, v248
	v_fmac_f16_e32 v242, 0x38b4, v245
	;; [unrolled: 1-line block ×4, first 2 shown]
	v_sub_f16_e32 v171, v75, v171
	v_sub_f16_e32 v195, v77, v76
	v_mul_f16_e32 v183, 0xbb9c, v179
	v_fmac_f16_e32 v178, 0x34f2, v179
	v_fmamk_f16 v179, v226, 0x3b9c, v74
	v_fmac_f16_e32 v192, 0xb8b4, v243
	v_fmac_f16_e32 v194, 0x38b4, v241
	ds_write_b32 v116, v198 offset:7200
	ds_write_b32 v116, v202 offset:8400
	;; [unrolled: 1-line block ×3, first 2 shown]
	v_pack_b32_f16 v197, v212, v218
	v_pack_b32_f16 v198, v227, v228
	v_fmac_f16_e32 v247, 0x34f2, v239
	v_fmac_f16_e32 v242, 0x34f2, v238
	v_fmamk_f16 v180, v217, 0x3b9c, v186
	v_fmac_f16_e32 v73, 0xbb9c, v175
	v_fmac_f16_e32 v220, 0x3b9c, v185
	;; [unrolled: 1-line block ×4, first 2 shown]
	v_add_f16_e32 v171, v171, v195
	v_fmac_f16_e32 v186, 0xbb9c, v217
	v_fmac_f16_e32 v179, 0xb8b4, v185
	v_fmac_f16_e32 v74, 0xbb9c, v226
	v_fmac_f16_e32 v184, 0xbb9c, v249
	v_fmac_f16_e32 v219, 0x3b9c, v215
	v_fmac_f16_e32 v192, 0x34f2, v204
	v_fmac_f16_e32 v194, 0x34f2, v196
	ds_write_b32 v116, v207 offset:10800
	ds_write2_b32 v116, v199, v209 offset1:100
	ds_write2_b32 v110, v197, v198 offset0:144 offset1:244
	v_fmac_f16_e32 v187, 0x38b4, v249
	v_mul_f16_e32 v197, 0x3b9c, v247
	v_mul_f16_e32 v198, 0xbb9c, v242
	v_fmac_f16_e32 v180, 0xb8b4, v215
	v_fmac_f16_e32 v73, 0xb8b4, v167
	;; [unrolled: 1-line block ×3, first 2 shown]
	v_mul_f16_e32 v167, 0xba79, v164
	v_mul_f16_e32 v173, 0xba79, v166
	v_add_f16_e32 v80, v154, v80
	v_add_f16_e32 v75, v193, v75
	;; [unrolled: 1-line block ×4, first 2 shown]
	v_fmac_f16_e32 v183, 0x34f2, v177
	v_fmac_f16_e32 v186, 0x38b4, v215
	v_mul_f16_e32 v182, 0xb4f2, v182
	v_fmac_f16_e32 v179, 0x34f2, v171
	v_fmac_f16_e32 v74, 0x38b4, v185
	v_mul_f16_e32 v168, 0xb4f2, v168
	;; [unrolled: 3-line block ×3, first 2 shown]
	v_mul_f16_e32 v170, 0xba79, v194
	v_fmac_f16_e32 v187, 0x34f2, v236
	v_fmac_f16_e32 v197, 0x34f2, v242
	v_fmac_f16_e32 v198, 0x34f2, v247
	v_fmac_f16_e32 v180, 0x34f2, v190
	v_fmac_f16_e32 v73, 0x34f2, v200
	v_fmac_f16_e32 v220, 0x34f2, v213
	v_fmac_f16_e32 v167, 0x38b4, v166
	v_fmac_f16_e32 v173, 0xb8b4, v164
	v_add_f16_e32 v78, v80, v78
	v_add_f16_e32 v75, v75, v77
	;; [unrolled: 1-line block ×5, first 2 shown]
	v_fmac_f16_e32 v186, 0x34f2, v190
	v_fmac_f16_e32 v182, 0xbb9c, v181
	v_add_f16_e32 v181, v179, v183
	v_fmac_f16_e32 v74, 0x34f2, v171
	v_fmac_f16_e32 v168, 0xbb9c, v172
	;; [unrolled: 1-line block ×6, first 2 shown]
	v_add_f16_e32 v177, v187, v197
	v_add_f16_e32 v195, v180, v198
	;; [unrolled: 1-line block ×9, first 2 shown]
	v_pack_b32_f16 v172, v199, v181
	v_add_f16_e32 v181, v74, v168
	v_add_f16_e32 v174, v184, v169
	;; [unrolled: 1-line block ×3, first 2 shown]
	v_pack_b32_f16 v177, v177, v195
	v_pack_b32_f16 v79, v161, v154
	v_sub_f16_e32 v80, v203, v205
	v_sub_f16_e32 v154, v201, v206
	;; [unrolled: 1-line block ×4, first 2 shown]
	v_pack_b32_f16 v171, v251, v171
	v_pack_b32_f16 v176, v176, v181
	;; [unrolled: 1-line block ×3, first 2 shown]
	ds_write2_b32 v128, v177, v172 offset0:60 offset1:160
	ds_write2_b32 v107, v171, v176 offset0:104 offset1:204
	;; [unrolled: 1-line block ×3, first 2 shown]
	v_pack_b32_f16 v79, v80, v154
	v_pack_b32_f16 v80, v155, v156
	v_sub_f16_e32 v156, v224, v222
	v_sub_f16_e32 v157, v225, v210
	;; [unrolled: 1-line block ×8, first 2 shown]
	ds_write2_b32 v104, v79, v80 offset0:64 offset1:164
	v_pack_b32_f16 v80, v156, v157
	v_sub_f16_e32 v156, v186, v182
	v_sub_f16_e32 v74, v74, v168
	v_pack_b32_f16 v79, v154, v155
	v_pack_b32_f16 v154, v158, v159
	v_sub_f16_e32 v157, v184, v169
	v_sub_f16_e32 v158, v219, v170
	;; [unrolled: 1-line block ×4, first 2 shown]
	v_add_f16_e32 v76, v78, v76
	v_add_f16_e32 v75, v75, v77
	v_pack_b32_f16 v155, v161, v162
	v_pack_b32_f16 v77, v189, v156
	;; [unrolled: 1-line block ×6, first 2 shown]
	ds_write2_b32 v121, v79, v80 offset0:108 offset1:208
	ds_write2_b32 v101, v154, v155 offset0:152 offset1:252
	;; [unrolled: 1-line block ×4, first 2 shown]
	ds_write_b32 v116, v75 offset:800
	s_waitcnt lgkmcnt(0)
	s_barrier
	buffer_gl0_inv
	global_load_dword v53, v[53:54], off offset:1760
	v_add_co_u32 v73, vcc_lo, 0x4000, v71
	v_add_co_ci_u32_e32 v74, vcc_lo, 0, v72, vcc_lo
	s_clause 0x1
	global_load_dword v154, v[73:74], off offset:1616
	global_load_dword v156, v[73:74], off offset:2016
	v_add_co_u32 v75, vcc_lo, 0x3800, v71
	v_add_co_ci_u32_e32 v76, vcc_lo, 0, v72, vcc_lo
	v_add_co_u32 v77, vcc_lo, 0x2ee0, v71
	v_add_co_ci_u32_e32 v78, vcc_lo, 0, v72, vcc_lo
	s_clause 0x6
	global_load_dword v157, v[75:76], off offset:64
	global_load_dword v160, v[75:76], off offset:464
	;; [unrolled: 1-line block ×7, first 2 shown]
	v_add_co_u32 v73, vcc_lo, 0x4800, v71
	v_add_co_ci_u32_e32 v74, vcc_lo, 0, v72, vcc_lo
	s_clause 0x1
	global_load_dword v165, v[73:74], off offset:768
	global_load_dword v166, v[73:74], off offset:368
	v_add_co_u32 v79, vcc_lo, 0x5000, v71
	v_add_co_ci_u32_e32 v80, vcc_lo, 0, v72, vcc_lo
	s_clause 0xa
	global_load_dword v167, v[79:80], off offset:1120
	global_load_dword v168, v[79:80], off offset:720
	;; [unrolled: 1-line block ×11, first 2 shown]
	v_add_co_u32 v71, vcc_lo, 0x5800, v71
	v_add_co_ci_u32_e32 v72, vcc_lo, 0, v72, vcc_lo
	s_clause 0x6
	global_load_dword v178, v[71:72], off offset:272
	global_load_dword v179, v[71:72], off offset:672
	;; [unrolled: 1-line block ×7, first 2 shown]
	ds_read2_b32 v[71:72], v116 offset1:100
	s_waitcnt lgkmcnt(0)
	v_lshrrev_b32_e32 v54, 16, v71
	s_waitcnt vmcnt(29)
	v_mul_f16_sdwa v73, v71, v53 dst_sel:DWORD dst_unused:UNUSED_PAD src0_sel:DWORD src1_sel:WORD_1
	v_mul_f16_sdwa v74, v54, v53 dst_sel:DWORD dst_unused:UNUSED_PAD src0_sel:DWORD src1_sel:WORD_1
	v_fmac_f16_e32 v73, v54, v53
	v_fma_f16 v53, v71, v53, -v74
	v_pack_b32_f16 v53, v53, v73
	ds_write_b32 v116, v53
	ds_read2_b32 v[53:54], v122 offset0:120 offset1:220
	ds_read2_b32 v[73:74], v104 offset0:64 offset1:164
	;; [unrolled: 1-line block ×4, first 2 shown]
	s_waitcnt lgkmcnt(3)
	v_lshrrev_b32_e32 v71, 16, v54
	s_waitcnt lgkmcnt(2)
	v_lshrrev_b32_e32 v155, 16, v73
	s_waitcnt vmcnt(28)
	v_mul_f16_sdwa v159, v54, v154 dst_sel:DWORD dst_unused:UNUSED_PAD src0_sel:DWORD src1_sel:WORD_1
	s_waitcnt vmcnt(27)
	v_mul_f16_sdwa v185, v73, v156 dst_sel:DWORD dst_unused:UNUSED_PAD src0_sel:DWORD src1_sel:WORD_1
	s_waitcnt lgkmcnt(0)
	v_lshrrev_b32_e32 v187, 16, v78
	v_mul_f16_sdwa v79, v71, v154 dst_sel:DWORD dst_unused:UNUSED_PAD src0_sel:DWORD src1_sel:WORD_1
	v_mul_f16_sdwa v186, v155, v156 dst_sel:DWORD dst_unused:UNUSED_PAD src0_sel:DWORD src1_sel:WORD_1
	v_fmac_f16_e32 v159, v71, v154
	v_lshrrev_b32_e32 v71, 16, v75
	v_fmac_f16_e32 v185, v155, v156
	v_fma_f16 v54, v54, v154, -v79
	ds_read2_b32 v[79:80], v123 offset0:48 offset1:148
	ds_read2_b32 v[154:155], v107 offset0:104 offset1:204
	v_fma_f16 v73, v73, v156, -v186
	s_waitcnt vmcnt(26)
	v_mul_f16_sdwa v186, v75, v157 dst_sel:DWORD dst_unused:UNUSED_PAD src0_sel:DWORD src1_sel:WORD_1
	v_mul_f16_sdwa v156, v71, v157 dst_sel:DWORD dst_unused:UNUSED_PAD src0_sel:DWORD src1_sel:WORD_1
	s_waitcnt vmcnt(24)
	v_mul_f16_sdwa v188, v78, v158 dst_sel:DWORD dst_unused:UNUSED_PAD src0_sel:DWORD src1_sel:WORD_1
	v_mul_f16_sdwa v189, v187, v158 dst_sel:DWORD dst_unused:UNUSED_PAD src0_sel:DWORD src1_sel:WORD_1
	v_pack_b32_f16 v54, v54, v159
	v_fmac_f16_e32 v186, v71, v157
	v_fma_f16 v71, v75, v157, -v156
	ds_read2_b32 v[156:157], v121 offset0:8 offset1:108
	v_fmac_f16_e32 v188, v187, v158
	v_fma_f16 v75, v78, v158, -v189
	v_pack_b32_f16 v73, v73, v185
	v_add_nc_u32_e32 v78, 0x1600, v116
	v_pack_b32_f16 v71, v71, v186
	v_add_nc_u32_e32 v158, 0x600, v116
	v_pack_b32_f16 v75, v75, v188
	s_waitcnt vmcnt(18)
	v_mul_f16_sdwa v186, v74, v166 dst_sel:DWORD dst_unused:UNUSED_PAD src0_sel:DWORD src1_sel:WORD_1
	ds_write2_b32 v78, v54, v73 offset0:92 offset1:192
	s_waitcnt lgkmcnt(3)
	v_lshrrev_b32_e32 v159, 16, v79
	s_waitcnt lgkmcnt(2)
	v_lshrrev_b32_e32 v54, 16, v155
	v_mul_f16_sdwa v73, v79, v161 dst_sel:DWORD dst_unused:UNUSED_PAD src0_sel:DWORD src1_sel:WORD_1
	ds_write2_b32 v158, v75, v71 offset0:116 offset1:216
	v_mul_f16_sdwa v75, v155, v164 dst_sel:DWORD dst_unused:UNUSED_PAD src0_sel:DWORD src1_sel:WORD_1
	v_mul_f16_sdwa v71, v159, v161 dst_sel:DWORD dst_unused:UNUSED_PAD src0_sel:DWORD src1_sel:WORD_1
	;; [unrolled: 1-line block ×3, first 2 shown]
	v_fmac_f16_e32 v73, v159, v161
	ds_read2_b32 v[158:159], v119 offset0:96 offset1:196
	v_fmac_f16_e32 v75, v54, v164
	v_fma_f16 v71, v79, v161, -v71
	v_fma_f16 v54, v155, v164, -v78
	ds_read2_b32 v[78:79], v101 offset0:152 offset1:252
	s_waitcnt lgkmcnt(4)
	v_lshrrev_b32_e32 v155, 16, v156
	v_lshrrev_b32_e32 v161, 16, v74
	v_pack_b32_f16 v71, v71, v73
	v_pack_b32_f16 v54, v54, v75
	v_mul_f16_sdwa v73, v156, v165 dst_sel:DWORD dst_unused:UNUSED_PAD src0_sel:DWORD src1_sel:WORD_1
	v_mul_f16_sdwa v75, v155, v165 dst_sel:DWORD dst_unused:UNUSED_PAD src0_sel:DWORD src1_sel:WORD_1
	v_add_nc_u32_e32 v164, 0x1000, v116
	v_mul_f16_sdwa v185, v161, v166 dst_sel:DWORD dst_unused:UNUSED_PAD src0_sel:DWORD src1_sel:WORD_1
	v_fmac_f16_e32 v186, v161, v166
	v_fmac_f16_e32 v73, v155, v165
	v_fma_f16 v75, v156, v165, -v75
	ds_read2_b32 v[155:156], v126 offset0:72 offset1:172
	ds_write2_b32 v164, v54, v71 offset0:76 offset1:176
	v_fma_f16 v74, v74, v166, -v185
	v_add_nc_u32_e32 v164, 0x1a00, v116
	s_waitcnt lgkmcnt(3)
	v_lshrrev_b32_e32 v54, 16, v158
	v_pack_b32_f16 v71, v75, v73
	s_waitcnt vmcnt(17)
	v_mul_f16_sdwa v73, v158, v167 dst_sel:DWORD dst_unused:UNUSED_PAD src0_sel:DWORD src1_sel:WORD_1
	v_pack_b32_f16 v74, v74, v186
	s_waitcnt lgkmcnt(2)
	v_lshrrev_b32_e32 v75, 16, v79
	v_mul_f16_sdwa v161, v54, v167 dst_sel:DWORD dst_unused:UNUSED_PAD src0_sel:DWORD src1_sel:WORD_1
	v_fmac_f16_e32 v73, v54, v167
	s_waitcnt vmcnt(16)
	v_mul_f16_sdwa v54, v79, v168 dst_sel:DWORD dst_unused:UNUSED_PAD src0_sel:DWORD src1_sel:WORD_1
	v_mul_f16_sdwa v165, v75, v168 dst_sel:DWORD dst_unused:UNUSED_PAD src0_sel:DWORD src1_sel:WORD_1
	v_fma_f16 v158, v158, v167, -v161
	ds_write2_b32 v164, v74, v71 offset0:36 offset1:136
	v_lshrrev_b32_e32 v71, 16, v77
	v_fmac_f16_e32 v54, v75, v168
	v_fma_f16 v75, v79, v168, -v165
	v_pack_b32_f16 v79, v158, v73
	s_waitcnt lgkmcnt(2)
	v_lshrrev_b32_e32 v158, 16, v156
	ds_read2_b32 v[73:74], v124 offset0:32 offset1:132
	s_waitcnt vmcnt(15)
	v_mul_f16_sdwa v161, v71, v169 dst_sel:DWORD dst_unused:UNUSED_PAD src0_sel:DWORD src1_sel:WORD_1
	v_pack_b32_f16 v54, v75, v54
	s_waitcnt vmcnt(14)
	v_mul_f16_sdwa v75, v156, v170 dst_sel:DWORD dst_unused:UNUSED_PAD src0_sel:DWORD src1_sel:WORD_1
	v_mul_f16_sdwa v164, v158, v170 dst_sel:DWORD dst_unused:UNUSED_PAD src0_sel:DWORD src1_sel:WORD_1
	;; [unrolled: 1-line block ×3, first 2 shown]
	v_fma_f16 v77, v77, v169, -v161
	v_lshrrev_b32_e32 v161, 16, v72
	v_fmac_f16_e32 v75, v158, v170
	v_fma_f16 v156, v156, v170, -v164
	v_fmac_f16_e32 v165, v71, v169
	v_add_nc_u32_e32 v71, 0x2200, v116
	s_waitcnt vmcnt(13)
	v_mul_f16_sdwa v158, v161, v171 dst_sel:DWORD dst_unused:UNUSED_PAD src0_sel:DWORD src1_sel:WORD_1
	v_mul_f16_sdwa v164, v72, v171 dst_sel:DWORD dst_unused:UNUSED_PAD src0_sel:DWORD src1_sel:WORD_1
	v_pack_b32_f16 v75, v156, v75
	v_pack_b32_f16 v77, v77, v165
	ds_write2_b32 v71, v54, v79 offset0:124 offset1:224
	v_lshrrev_b32_e32 v54, 16, v154
	v_fma_f16 v79, v72, v171, -v158
	ds_read2_b32 v[71:72], v120 offset0:80 offset1:180
	ds_write2_b32 v110, v75, v77 offset0:44 offset1:144
	s_waitcnt lgkmcnt(3)
	v_lshrrev_b32_e32 v75, 16, v74
	v_fmac_f16_e32 v164, v161, v171
	s_waitcnt vmcnt(12)
	v_mul_f16_sdwa v77, v54, v172 dst_sel:DWORD dst_unused:UNUSED_PAD src0_sel:DWORD src1_sel:WORD_1
	v_lshrrev_b32_e32 v156, 16, v76
	s_waitcnt vmcnt(11)
	v_mul_f16_sdwa v158, v74, v173 dst_sel:DWORD dst_unused:UNUSED_PAD src0_sel:DWORD src1_sel:WORD_1
	v_mul_f16_sdwa v161, v75, v173 dst_sel:DWORD dst_unused:UNUSED_PAD src0_sel:DWORD src1_sel:WORD_1
	;; [unrolled: 1-line block ×3, first 2 shown]
	v_fma_f16 v77, v154, v172, -v77
	v_mul_f16_sdwa v166, v156, v160 dst_sel:DWORD dst_unused:UNUSED_PAD src0_sel:DWORD src1_sel:WORD_1
	v_fmac_f16_e32 v158, v75, v173
	v_fma_f16 v74, v74, v173, -v161
	v_fmac_f16_e32 v165, v54, v172
	v_mul_f16_sdwa v154, v76, v160 dst_sel:DWORD dst_unused:UNUSED_PAD src0_sel:DWORD src1_sel:WORD_1
	v_lshrrev_b32_e32 v75, 16, v80
	v_fma_f16 v54, v76, v160, -v166
	v_pack_b32_f16 v74, v74, v158
	v_pack_b32_f16 v76, v77, v165
	v_fmac_f16_e32 v154, v156, v160
	v_mul_f16_sdwa v77, v75, v162 dst_sel:DWORD dst_unused:UNUSED_PAD src0_sel:DWORD src1_sel:WORD_1
	v_mul_f16_sdwa v156, v80, v162 dst_sel:DWORD dst_unused:UNUSED_PAD src0_sel:DWORD src1_sel:WORD_1
	v_lshrrev_b32_e32 v158, 16, v78
	ds_write2_b32 v124, v74, v76 offset0:132 offset1:232
	s_waitcnt lgkmcnt(2)
	v_lshrrev_b32_e32 v161, 16, v72
	v_fma_f16 v80, v80, v162, -v77
	v_fmac_f16_e32 v156, v75, v162
	ds_read2_b32 v[74:75], v114 offset0:40 offset1:140
	ds_read2_b32 v[76:77], v98 offset0:112 offset1:212
	s_waitcnt vmcnt(10)
	v_mul_f16_sdwa v160, v158, v174 dst_sel:DWORD dst_unused:UNUSED_PAD src0_sel:DWORD src1_sel:WORD_1
	s_waitcnt vmcnt(9)
	v_mul_f16_sdwa v162, v72, v175 dst_sel:DWORD dst_unused:UNUSED_PAD src0_sel:DWORD src1_sel:WORD_1
	v_mul_f16_sdwa v165, v161, v175 dst_sel:DWORD dst_unused:UNUSED_PAD src0_sel:DWORD src1_sel:WORD_1
	;; [unrolled: 1-line block ×3, first 2 shown]
	v_lshrrev_b32_e32 v167, 16, v157
	v_fma_f16 v78, v78, v174, -v160
	v_fmac_f16_e32 v162, v161, v175
	v_fma_f16 v72, v72, v175, -v165
	v_fmac_f16_e32 v166, v158, v174
	s_waitcnt vmcnt(8)
	v_mul_f16_sdwa v158, v167, v176 dst_sel:DWORD dst_unused:UNUSED_PAD src0_sel:DWORD src1_sel:WORD_1
	v_lshrrev_b32_e32 v160, 16, v159
	v_mul_f16_sdwa v161, v157, v176 dst_sel:DWORD dst_unused:UNUSED_PAD src0_sel:DWORD src1_sel:WORD_1
	v_pack_b32_f16 v72, v72, v162
	v_pack_b32_f16 v78, v78, v166
	v_fma_f16 v157, v157, v176, -v158
	s_waitcnt vmcnt(7)
	v_mul_f16_sdwa v158, v160, v177 dst_sel:DWORD dst_unused:UNUSED_PAD src0_sel:DWORD src1_sel:WORD_1
	v_mul_f16_sdwa v162, v159, v177 dst_sel:DWORD dst_unused:UNUSED_PAD src0_sel:DWORD src1_sel:WORD_1
	v_lshrrev_b32_e32 v166, 16, v155
	ds_write2_b32 v101, v72, v78 offset0:52 offset1:152
	s_waitcnt lgkmcnt(2)
	v_lshrrev_b32_e32 v72, 16, v75
	v_fma_f16 v78, v159, v177, -v158
	s_waitcnt vmcnt(6)
	v_mul_f16_sdwa v158, v75, v178 dst_sel:DWORD dst_unused:UNUSED_PAD src0_sel:DWORD src1_sel:WORD_1
	s_waitcnt lgkmcnt(1)
	v_lshrrev_b32_e32 v159, 16, v76
	v_fmac_f16_e32 v162, v160, v177
	v_mul_f16_sdwa v160, v72, v178 dst_sel:DWORD dst_unused:UNUSED_PAD src0_sel:DWORD src1_sel:WORD_1
	s_waitcnt vmcnt(5)
	v_mul_f16_sdwa v165, v76, v179 dst_sel:DWORD dst_unused:UNUSED_PAD src0_sel:DWORD src1_sel:WORD_1
	v_fmac_f16_e32 v158, v72, v178
	v_mul_f16_sdwa v72, v159, v179 dst_sel:DWORD dst_unused:UNUSED_PAD src0_sel:DWORD src1_sel:WORD_1
	v_pack_b32_f16 v79, v79, v164
	v_fma_f16 v75, v75, v178, -v160
	v_fmac_f16_e32 v165, v159, v179
	s_waitcnt vmcnt(4)
	v_mul_f16_sdwa v159, v166, v180 dst_sel:DWORD dst_unused:UNUSED_PAD src0_sel:DWORD src1_sel:WORD_1
	v_mul_f16_sdwa v160, v155, v180 dst_sel:DWORD dst_unused:UNUSED_PAD src0_sel:DWORD src1_sel:WORD_1
	v_fma_f16 v72, v76, v179, -v72
	v_pack_b32_f16 v75, v75, v158
	v_lshrrev_b32_e32 v76, 16, v73
	v_fma_f16 v155, v155, v180, -v159
	v_fmac_f16_e32 v160, v166, v180
	v_pack_b32_f16 v72, v72, v165
	s_waitcnt vmcnt(3)
	v_mul_f16_sdwa v159, v73, v181 dst_sel:DWORD dst_unused:UNUSED_PAD src0_sel:DWORD src1_sel:WORD_1
	v_mul_f16_sdwa v158, v76, v181 dst_sel:DWORD dst_unused:UNUSED_PAD src0_sel:DWORD src1_sel:WORD_1
	v_pack_b32_f16 v54, v54, v154
	v_pack_b32_f16 v155, v155, v160
	ds_write2_b32 v114, v75, v72 offset0:140 offset1:240
	v_lshrrev_b32_e32 v72, 16, v53
	v_lshrrev_b32_e32 v75, 16, v71
	v_fmac_f16_e32 v159, v76, v181
	ds_write2_b32 v116, v79, v155 offset0:100 offset1:200
	v_mul_f16_sdwa v79, v53, v163 dst_sel:DWORD dst_unused:UNUSED_PAD src0_sel:DWORD src1_sel:WORD_1
	v_mul_f16_sdwa v76, v72, v163 dst_sel:DWORD dst_unused:UNUSED_PAD src0_sel:DWORD src1_sel:WORD_1
	s_waitcnt vmcnt(2)
	v_mul_f16_sdwa v154, v75, v182 dst_sel:DWORD dst_unused:UNUSED_PAD src0_sel:DWORD src1_sel:WORD_1
	s_waitcnt vmcnt(1)
	v_mul_f16_sdwa v155, v74, v183 dst_sel:DWORD dst_unused:UNUSED_PAD src0_sel:DWORD src1_sel:WORD_1
	v_fma_f16 v73, v73, v181, -v158
	v_fmac_f16_e32 v79, v72, v163
	v_fma_f16 v53, v53, v163, -v76
	v_mul_f16_sdwa v76, v71, v182 dst_sel:DWORD dst_unused:UNUSED_PAD src0_sel:DWORD src1_sel:WORD_1
	v_lshrrev_b32_e32 v72, 16, v74
	v_fma_f16 v71, v71, v182, -v154
	v_lshrrev_b32_e32 v154, 16, v77
	s_waitcnt vmcnt(0)
	v_mul_f16_sdwa v158, v77, v184 dst_sel:DWORD dst_unused:UNUSED_PAD src0_sel:DWORD src1_sel:WORD_1
	v_fmac_f16_e32 v76, v75, v182
	v_pack_b32_f16 v75, v80, v156
	v_mul_f16_sdwa v80, v72, v183 dst_sel:DWORD dst_unused:UNUSED_PAD src0_sel:DWORD src1_sel:WORD_1
	v_mul_f16_sdwa v156, v154, v184 dst_sel:DWORD dst_unused:UNUSED_PAD src0_sel:DWORD src1_sel:WORD_1
	v_fmac_f16_e32 v161, v167, v176
	v_fmac_f16_e32 v155, v72, v183
	;; [unrolled: 1-line block ×3, first 2 shown]
	v_fma_f16 v74, v74, v183, -v80
	v_fma_f16 v72, v77, v184, -v156
	v_pack_b32_f16 v73, v73, v159
	v_pack_b32_f16 v53, v53, v79
	;; [unrolled: 1-line block ×7, first 2 shown]
	ds_write2_b32 v128, v54, v73 offset0:60 offset1:160
	ds_write2_b32 v122, v75, v53 offset0:20 offset1:120
	;; [unrolled: 1-line block ×4, first 2 shown]
	ds_write_b32 v116, v72 offset:11600
	s_waitcnt lgkmcnt(0)
	s_barrier
	buffer_gl0_inv
	ds_read2_b32 v[53:54], v119 offset0:96 offset1:196
	ds_read2_b32 v[154:155], v125 offset0:88 offset1:188
	;; [unrolled: 1-line block ×4, first 2 shown]
	ds_read2_b32 v[160:161], v116 offset1:100
	ds_read2_b32 v[73:74], v114 offset0:40 offset1:140
	ds_read2_b32 v[77:78], v124 offset0:32 offset1:132
	s_waitcnt lgkmcnt(5)
	v_add_f16_e32 v71, v154, v53
	s_waitcnt lgkmcnt(4)
	v_sub_f16_e32 v72, v156, v53
	s_waitcnt lgkmcnt(3)
	v_sub_f16_e32 v75, v158, v154
	v_sub_f16_sdwa v177, v158, v156 dst_sel:DWORD dst_unused:UNUSED_PAD src0_sel:WORD_1 src1_sel:WORD_1
	v_sub_f16_sdwa v179, v154, v53 dst_sel:DWORD dst_unused:UNUSED_PAD src0_sel:WORD_1 src1_sel:WORD_1
	s_waitcnt lgkmcnt(2)
	v_fma_f16 v176, -0.5, v71, v160
	v_add_f16_sdwa v163, v158, v156 dst_sel:DWORD dst_unused:UNUSED_PAD src0_sel:WORD_1 src1_sel:WORD_1
	v_add_f16_e32 v162, v75, v72
	ds_read2_b32 v[75:76], v120 offset0:80 offset1:180
	ds_read2_b32 v[71:72], v126 offset0:72 offset1:172
	ds_read2_b32 v[79:80], v122 offset0:120 offset1:220
	v_lshrrev_b32_e32 v180, 16, v160
	v_fmamk_f16 v178, v177, 0x3b9c, v176
	v_fmac_f16_e32 v176, 0xbb9c, v177
	v_add_f16_sdwa v164, v154, v53 dst_sel:DWORD dst_unused:UNUSED_PAD src0_sel:WORD_1 src1_sel:WORD_1
	s_waitcnt lgkmcnt(3)
	v_add_f16_e32 v165, v78, v74
	v_fma_f16 v181, -0.5, v163, v180
	v_fmac_f16_e32 v178, 0xb8b4, v179
	v_fmac_f16_e32 v176, 0x38b4, v179
	v_fmac_f16_e32 v180, -0.5, v164
	v_sub_f16_sdwa v163, v158, v154 dst_sel:DWORD dst_unused:UNUSED_PAD src0_sel:WORD_1 src1_sel:WORD_1
	v_sub_f16_sdwa v164, v156, v53 dst_sel:DWORD dst_unused:UNUSED_PAD src0_sel:WORD_1 src1_sel:WORD_1
	v_fmac_f16_e32 v178, 0x34f2, v162
	v_fmac_f16_e32 v176, 0x34f2, v162
	v_add_f16_sdwa v166, v78, v74 dst_sel:DWORD dst_unused:UNUSED_PAD src0_sel:WORD_1 src1_sel:WORD_1
	v_sub_f16_e32 v182, v158, v156
	v_add_f16_e32 v162, v163, v164
	v_sub_f16_e32 v172, v78, v74
	s_waitcnt lgkmcnt(2)
	v_sub_f16_sdwa v169, v76, v74 dst_sel:DWORD dst_unused:UNUSED_PAD src0_sel:WORD_1 src1_sel:WORD_1
	s_waitcnt lgkmcnt(1)
	v_fma_f16 v163, -0.5, v165, v72
	s_waitcnt lgkmcnt(0)
	v_add_f16_sdwa v164, v80, v76 dst_sel:DWORD dst_unused:UNUSED_PAD src0_sel:WORD_1 src1_sel:WORD_1
	v_lshrrev_b32_e32 v165, 16, v72
	v_sub_f16_e32 v187, v80, v76
	v_sub_f16_sdwa v185, v80, v76 dst_sel:DWORD dst_unused:UNUSED_PAD src0_sel:WORD_1 src1_sel:WORD_1
	v_sub_f16_sdwa v168, v80, v78 dst_sel:DWORD dst_unused:UNUSED_PAD src0_sel:WORD_1 src1_sel:WORD_1
	v_fmamk_f16 v183, v182, 0xbb9c, v180
	v_fma_f16 v186, -0.5, v164, v165
	v_fmac_f16_e32 v165, -0.5, v166
	v_sub_f16_e32 v184, v154, v53
	v_fmac_f16_e32 v180, 0x3b9c, v182
	v_sub_f16_e32 v167, v76, v74
	v_sub_f16_e32 v164, v80, v78
	v_fmamk_f16 v170, v187, 0xbb9c, v165
	v_fmamk_f16 v166, v185, 0x3b9c, v163
	v_fmac_f16_e32 v165, 0x3b9c, v187
	v_sub_f16_sdwa v188, v78, v74 dst_sel:DWORD dst_unused:UNUSED_PAD src0_sel:WORD_1 src1_sel:WORD_1
	v_add_f16_e32 v168, v168, v169
	v_fmac_f16_e32 v170, 0x38b4, v172
	v_fmac_f16_e32 v183, 0x38b4, v184
	;; [unrolled: 1-line block ×4, first 2 shown]
	v_add_f16_e32 v164, v164, v167
	v_fmac_f16_e32 v166, 0xb8b4, v188
	v_fmac_f16_e32 v170, 0x34f2, v168
	;; [unrolled: 1-line block ×6, first 2 shown]
	v_mul_f16_e32 v191, 0xbb9c, v170
	v_mul_f16_e32 v192, 0x34f2, v170
	v_add_f16_e32 v162, v80, v76
	v_mul_f16_e32 v189, 0xbb9c, v165
	v_mul_f16_e32 v190, 0xb4f2, v165
	v_fmac_f16_e32 v191, 0x34f2, v166
	v_fmac_f16_e32 v192, 0x3b9c, v166
	v_sub_f16_sdwa v165, v78, v80 dst_sel:DWORD dst_unused:UNUSED_PAD src0_sel:WORD_1 src1_sel:WORD_1
	v_sub_f16_sdwa v166, v74, v76 dst_sel:DWORD dst_unused:UNUSED_PAD src0_sel:WORD_1 src1_sel:WORD_1
	v_fma_f16 v193, -0.5, v162, v72
	v_sub_f16_e32 v167, v74, v76
	v_sub_f16_e32 v168, v78, v80
	v_fmamk_f16 v162, v172, 0x3b9c, v186
	v_add_f16_e32 v194, v165, v166
	v_fmamk_f16 v165, v188, 0xbb9c, v193
	v_sub_f16_e32 v166, v53, v156
	v_add_f16_e32 v195, v168, v167
	v_add_f16_e32 v168, v158, v156
	v_fmac_f16_e32 v162, 0x38b4, v187
	v_fmac_f16_e32 v165, 0xb8b4, v185
	v_sub_f16_e32 v169, v154, v158
	v_sub_f16_sdwa v167, v154, v158 dst_sel:DWORD dst_unused:UNUSED_PAD src0_sel:WORD_1 src1_sel:WORD_1
	v_fma_f16 v197, -0.5, v168, v160
	v_fmac_f16_e32 v162, 0x34f2, v194
	v_sub_f16_sdwa v170, v53, v156 dst_sel:DWORD dst_unused:UNUSED_PAD src0_sel:WORD_1 src1_sel:WORD_1
	v_fmac_f16_e32 v165, 0x34f2, v195
	v_pk_add_f16 v154, v160, v154
	v_fmamk_f16 v160, v179, 0xbb9c, v197
	v_fmamk_f16 v200, v184, 0x3b9c, v181
	v_fmac_f16_e32 v163, 0xbb9c, v185
	v_mul_f16_e32 v196, 0xb8b4, v162
	v_add_f16_e32 v198, v169, v166
	v_add_f16_e32 v199, v167, v170
	v_pk_add_f16 v72, v72, v78
	v_mul_f16_e32 v78, 0x38b4, v165
	v_pk_add_f16 v154, v154, v158
	v_fmac_f16_e32 v160, 0xb8b4, v177
	v_fmac_f16_e32 v200, 0x38b4, v182
	;; [unrolled: 1-line block ×5, first 2 shown]
	v_pk_add_f16 v72, v72, v80
	v_fmac_f16_e32 v78, 0x3a79, v162
	v_pk_add_f16 v80, v154, v156
	v_fmac_f16_e32 v160, 0x34f2, v198
	v_fmac_f16_e32 v200, 0x34f2, v199
	;; [unrolled: 1-line block ×5, first 2 shown]
	v_add_f16_e32 v171, v178, v191
	v_pk_add_f16 v72, v72, v76
	v_add_f16_e32 v76, v183, v192
	v_pk_add_f16 v53, v80, v53
	v_add_f16_e32 v80, v160, v196
	v_add_f16_e32 v154, v200, v78
	v_fmac_f16_e32 v197, 0x3b9c, v179
	v_fmac_f16_e32 v181, 0xbb9c, v184
	;; [unrolled: 1-line block ×6, first 2 shown]
	v_pack_b32_f16 v162, v171, v76
	v_pack_b32_f16 v165, v80, v154
	v_fmac_f16_e32 v197, 0x38b4, v177
	v_fmac_f16_e32 v181, 0xb8b4, v182
	;; [unrolled: 1-line block ×3, first 2 shown]
	v_mul_f16_e32 v76, 0xb8b4, v186
	v_mul_f16_e32 v80, 0xba79, v186
	v_add_f16_e32 v163, v176, v189
	v_add_f16_e32 v164, v180, v190
	v_pk_add_f16 v72, v72, v74
	ds_read2_b32 v[166:167], v110 offset0:144 offset1:244
	ds_read2_b32 v[168:169], v107 offset0:104 offset1:204
	;; [unrolled: 1-line block ×5, first 2 shown]
	v_sub_f16_e32 v74, v178, v191
	v_sub_f16_e32 v154, v183, v192
	v_fmac_f16_e32 v197, 0x34f2, v198
	v_fmac_f16_e32 v181, 0x34f2, v199
	;; [unrolled: 1-line block ×4, first 2 shown]
	v_pack_b32_f16 v163, v163, v164
	v_pk_add_f16 v164, v53, v72
	v_pk_add_f16 v179, v53, v72 neg_lo:[0,1] neg_hi:[0,1]
	v_pk_add_f16 v53, v161, v155
	v_sub_f16_e32 v156, v160, v196
	v_sub_f16_e32 v78, v200, v78
	v_pack_b32_f16 v177, v74, v154
	v_add_f16_e32 v74, v197, v76
	v_add_f16_e32 v154, v181, v80
	v_sub_f16_e32 v158, v176, v189
	v_sub_f16_e32 v76, v197, v76
	;; [unrolled: 1-line block ×4, first 2 shown]
	v_pk_add_f16 v53, v53, v159
	v_pack_b32_f16 v176, v156, v78
	v_pack_b32_f16 v178, v74, v154
	;; [unrolled: 1-line block ×4, first 2 shown]
	s_waitcnt lgkmcnt(0)
	s_barrier
	buffer_gl0_inv
	ds_write2_b64 v131, v[164:165], v[162:163] offset1:1
	ds_write2_b64 v131, v[178:179], v[176:177] offset0:2 offset1:3
	ds_write_b64 v131, v[180:181] offset:32
	v_add_f16_e32 v72, v159, v157
	v_sub_f16_sdwa v74, v159, v157 dst_sel:DWORD dst_unused:UNUSED_PAD src0_sel:WORD_1 src1_sel:WORD_1
	v_sub_f16_e32 v76, v155, v159
	v_sub_f16_e32 v78, v159, v155
	v_add_f16_sdwa v80, v159, v157 dst_sel:DWORD dst_unused:UNUSED_PAD src0_sel:WORD_1 src1_sel:WORD_1
	v_sub_f16_e32 v131, v159, v157
	v_sub_f16_sdwa v154, v155, v159 dst_sel:DWORD dst_unused:UNUSED_PAD src0_sel:WORD_1 src1_sel:WORD_1
	v_sub_f16_sdwa v156, v159, v155 dst_sel:DWORD dst_unused:UNUSED_PAD src0_sel:WORD_1 src1_sel:WORD_1
	v_add_f16_e32 v159, v155, v54
	v_pk_add_f16 v53, v53, v157
	v_sub_f16_e32 v162, v54, v157
	v_sub_f16_e32 v163, v157, v54
	v_sub_f16_sdwa v165, v54, v157 dst_sel:DWORD dst_unused:UNUSED_PAD src0_sel:WORD_1 src1_sel:WORD_1
	v_sub_f16_sdwa v157, v157, v54 dst_sel:DWORD dst_unused:UNUSED_PAD src0_sel:WORD_1 src1_sel:WORD_1
	;; [unrolled: 1-line block ×3, first 2 shown]
	v_sub_f16_e32 v160, v155, v54
	v_add_f16_sdwa v155, v155, v54 dst_sel:DWORD dst_unused:UNUSED_PAD src0_sel:WORD_1 src1_sel:WORD_1
	v_lshrrev_b32_e32 v164, 16, v161
	v_fma_f16 v159, -0.5, v159, v161
	v_pk_add_f16 v176, v53, v54
	v_fma_f16 v72, -0.5, v72, v161
	v_add_f16_e32 v53, v78, v163
	v_add_f16_e32 v54, v156, v157
	v_add_f16_sdwa v156, v170, v172 dst_sel:DWORD dst_unused:UNUSED_PAD src0_sel:WORD_1 src1_sel:WORD_1
	v_lshrrev_b32_e32 v157, 16, v166
	v_add_f16_sdwa v161, v168, v174 dst_sel:DWORD dst_unused:UNUSED_PAD src0_sel:WORD_1 src1_sel:WORD_1
	v_add_f16_e32 v163, v168, v174
	v_fma_f16 v80, -0.5, v80, v164
	v_fmac_f16_e32 v164, -0.5, v155
	v_fmamk_f16 v155, v74, 0x3b9c, v159
	v_fmac_f16_e32 v159, 0xbb9c, v74
	v_fma_f16 v156, -0.5, v156, v157
	v_fmac_f16_e32 v157, -0.5, v161
	v_sub_f16_e32 v161, v170, v172
	v_fma_f16 v163, -0.5, v163, v166
	v_sub_f16_sdwa v179, v170, v172 dst_sel:DWORD dst_unused:UNUSED_PAD src0_sel:WORD_1 src1_sel:WORD_1
	v_fmac_f16_e32 v155, 0xb8b4, v158
	v_fmac_f16_e32 v159, 0x38b4, v158
	v_sub_f16_e32 v177, v172, v174
	v_sub_f16_e32 v178, v170, v168
	v_sub_f16_sdwa v180, v170, v168 dst_sel:DWORD dst_unused:UNUSED_PAD src0_sel:WORD_1 src1_sel:WORD_1
	v_sub_f16_sdwa v181, v172, v174 dst_sel:DWORD dst_unused:UNUSED_PAD src0_sel:WORD_1 src1_sel:WORD_1
	v_fmamk_f16 v182, v161, 0xbb9c, v157
	v_fmac_f16_e32 v157, 0x3b9c, v161
	v_sub_f16_e32 v183, v168, v174
	v_fmamk_f16 v184, v179, 0x3b9c, v163
	v_fmac_f16_e32 v163, 0xbb9c, v179
	v_sub_f16_sdwa v185, v168, v174 dst_sel:DWORD dst_unused:UNUSED_PAD src0_sel:WORD_1 src1_sel:WORD_1
	v_fmamk_f16 v78, v131, 0xbb9c, v164
	v_fmac_f16_e32 v164, 0x3b9c, v131
	v_add_f16_e32 v180, v180, v181
	v_fmac_f16_e32 v157, 0xb8b4, v183
	v_fmac_f16_e32 v155, 0x34f2, v53
	;; [unrolled: 1-line block ×3, first 2 shown]
	v_add_f16_e32 v53, v178, v177
	v_fmac_f16_e32 v163, 0x38b4, v185
	v_fmac_f16_e32 v184, 0xb8b4, v185
	;; [unrolled: 1-line block ×8, first 2 shown]
	v_add_f16_e32 v53, v170, v172
	v_fmac_f16_e32 v78, 0x34f2, v54
	v_mul_f16_e32 v177, 0xbb9c, v157
	v_mul_f16_e32 v157, 0xb4f2, v157
	v_fmac_f16_e32 v164, 0x34f2, v54
	v_fmac_f16_e32 v182, 0x34f2, v180
	v_sub_f16_sdwa v54, v168, v170 dst_sel:DWORD dst_unused:UNUSED_PAD src0_sel:WORD_1 src1_sel:WORD_1
	v_sub_f16_sdwa v180, v174, v172 dst_sel:DWORD dst_unused:UNUSED_PAD src0_sel:WORD_1 src1_sel:WORD_1
	v_fma_f16 v181, -0.5, v53, v166
	v_fmac_f16_e32 v177, 0xb4f2, v163
	v_fmac_f16_e32 v157, 0x3b9c, v163
	v_mul_f16_e32 v163, 0xbb9c, v182
	v_mul_f16_e32 v178, 0x34f2, v182
	v_sub_f16_e32 v53, v174, v172
	v_sub_f16_e32 v186, v168, v170
	v_add_f16_e32 v180, v54, v180
	v_fmamk_f16 v54, v185, 0xbb9c, v181
	v_fmamk_f16 v182, v183, 0x3b9c, v156
	v_fmac_f16_e32 v163, 0x34f2, v184
	v_fmac_f16_e32 v178, 0x3b9c, v184
	v_add_f16_e32 v184, v186, v53
	v_fmac_f16_e32 v54, 0xb8b4, v179
	v_fmac_f16_e32 v182, 0x38b4, v161
	v_add_f16_e32 v53, v159, v177
	v_fmamk_f16 v186, v158, 0xbb9c, v72
	v_add_f16_e32 v187, v164, v157
	v_fmac_f16_e32 v54, 0x34f2, v184
	v_fmac_f16_e32 v182, 0x34f2, v180
	v_add_f16_e32 v76, v76, v162
	v_add_f16_e32 v162, v155, v163
	;; [unrolled: 1-line block ×3, first 2 shown]
	v_mul_f16_e32 v190, 0x38b4, v54
	v_mul_f16_e32 v188, 0xb8b4, v182
	v_fmac_f16_e32 v186, 0xb8b4, v74
	v_sub_f16_e32 v163, v155, v163
	v_fmac_f16_e32 v156, 0xbb9c, v183
	v_fmac_f16_e32 v190, 0x3a79, v182
	v_fmamk_f16 v182, v160, 0x3b9c, v80
	v_fmac_f16_e32 v188, 0x3a79, v54
	v_pack_b32_f16 v54, v53, v187
	v_pack_b32_f16 v53, v162, v189
	v_add_f16_e32 v162, v154, v165
	v_pk_add_f16 v155, v166, v168
	v_fmac_f16_e32 v182, 0x38b4, v131
	v_fmac_f16_e32 v186, 0x34f2, v76
	;; [unrolled: 1-line block ×5, first 2 shown]
	v_pk_add_f16 v155, v155, v170
	v_fmac_f16_e32 v182, 0x34f2, v162
	v_fmac_f16_e32 v156, 0xb8b4, v161
	v_add_f16_e32 v154, v186, v188
	v_fmac_f16_e32 v72, 0x38b4, v74
	v_fmac_f16_e32 v80, 0xb8b4, v131
	v_pk_add_f16 v74, v155, v172
	v_add_f16_e32 v131, v182, v190
	v_fmac_f16_e32 v181, 0x38b4, v179
	v_fmac_f16_e32 v156, 0x34f2, v180
	v_sub_f16_e32 v165, v186, v188
	v_pk_add_f16 v74, v74, v174
	v_pack_b32_f16 v155, v154, v131
	v_fmac_f16_e32 v181, 0x34f2, v184
	v_mul_f16_e32 v131, 0xb8b4, v156
	v_mul_f16_e32 v156, 0xba79, v156
	v_sub_f16_e32 v78, v78, v178
	v_sub_f16_e32 v158, v182, v190
	v_pk_add_f16 v154, v176, v74
	v_fmac_f16_e32 v72, 0x34f2, v76
	v_fmac_f16_e32 v80, 0x34f2, v162
	;; [unrolled: 1-line block ×4, first 2 shown]
	ds_write2_b64 v130, v[154:155], v[53:54] offset1:1
	v_pack_b32_f16 v54, v163, v78
	v_pack_b32_f16 v53, v165, v158
	v_add_f16_e32 v76, v72, v131
	v_add_f16_e32 v78, v80, v156
	v_sub_f16_e32 v158, v159, v177
	v_sub_f16_e32 v72, v72, v131
	;; [unrolled: 1-line block ×3, first 2 shown]
	v_pk_add_f16 v159, v71, v77
	v_sub_f16_e32 v131, v164, v157
	v_pk_add_f16 v155, v176, v74 neg_lo:[0,1] neg_hi:[0,1]
	v_add_f16_e32 v74, v79, v75
	v_pack_b32_f16 v157, v72, v80
	v_pk_add_f16 v72, v159, v79
	v_sub_f16_e32 v80, v79, v77
	v_add_f16_e32 v161, v77, v73
	v_pk_add_f16 v164, v167, v169
	v_sub_f16_e32 v165, v75, v73
	v_pk_add_f16 v72, v72, v75
	v_pack_b32_f16 v154, v76, v78
	v_pack_b32_f16 v156, v158, v131
	v_sub_f16_sdwa v76, v79, v75 dst_sel:DWORD dst_unused:UNUSED_PAD src0_sel:WORD_1 src1_sel:WORD_1
	v_sub_f16_e32 v78, v77, v79
	v_add_f16_sdwa v131, v79, v75 dst_sel:DWORD dst_unused:UNUSED_PAD src0_sel:WORD_1 src1_sel:WORD_1
	v_sub_f16_e32 v158, v79, v75
	v_sub_f16_sdwa v159, v77, v79 dst_sel:DWORD dst_unused:UNUSED_PAD src0_sel:WORD_1 src1_sel:WORD_1
	v_sub_f16_sdwa v79, v79, v77 dst_sel:DWORD dst_unused:UNUSED_PAD src0_sel:WORD_1 src1_sel:WORD_1
	;; [unrolled: 1-line block ×3, first 2 shown]
	v_sub_f16_e32 v162, v77, v73
	v_add_f16_sdwa v77, v77, v73 dst_sel:DWORD dst_unused:UNUSED_PAD src0_sel:WORD_1 src1_sel:WORD_1
	v_sub_f16_e32 v163, v73, v75
	v_sub_f16_sdwa v166, v73, v75 dst_sel:DWORD dst_unused:UNUSED_PAD src0_sel:WORD_1 src1_sel:WORD_1
	v_sub_f16_sdwa v75, v75, v73 dst_sel:DWORD dst_unused:UNUSED_PAD src0_sel:WORD_1 src1_sel:WORD_1
	v_pk_add_f16 v168, v72, v73
	v_pk_add_f16 v72, v164, v171
	v_add_f16_e32 v73, v171, v173
	v_sub_f16_sdwa v164, v171, v173 dst_sel:DWORD dst_unused:UNUSED_PAD src0_sel:WORD_1 src1_sel:WORD_1
	v_sub_f16_e32 v170, v169, v171
	v_sub_f16_e32 v172, v171, v169
	v_add_f16_sdwa v174, v171, v173 dst_sel:DWORD dst_unused:UNUSED_PAD src0_sel:WORD_1 src1_sel:WORD_1
	v_sub_f16_e32 v176, v171, v173
	v_sub_f16_sdwa v177, v169, v171 dst_sel:DWORD dst_unused:UNUSED_PAD src0_sel:WORD_1 src1_sel:WORD_1
	v_sub_f16_sdwa v171, v171, v169 dst_sel:DWORD dst_unused:UNUSED_PAD src0_sel:WORD_1 src1_sel:WORD_1
	;; [unrolled: 1-line block ×3, first 2 shown]
	v_add_f16_e32 v179, v169, v175
	v_sub_f16_e32 v180, v169, v175
	v_add_f16_sdwa v169, v169, v175 dst_sel:DWORD dst_unused:UNUSED_PAD src0_sel:WORD_1 src1_sel:WORD_1
	v_fma_f16 v161, -0.5, v161, v71
	v_add_f16_e32 v80, v80, v165
	v_fma_f16 v165, -0.5, v74, v71
	v_lshrrev_b32_e32 v185, 16, v71
	v_lshrrev_b32_e32 v71, 16, v167
	v_fmamk_f16 v184, v76, 0x3b9c, v161
	v_fmac_f16_e32 v161, 0xbb9c, v76
	v_fma_f16 v186, -0.5, v73, v167
	v_fma_f16 v73, -0.5, v179, v167
	;; [unrolled: 1-line block ×3, first 2 shown]
	v_fmac_f16_e32 v71, -0.5, v169
	v_pk_add_f16 v72, v72, v173
	v_sub_f16_e32 v181, v175, v173
	v_sub_f16_e32 v182, v173, v175
	v_sub_f16_sdwa v183, v175, v173 dst_sel:DWORD dst_unused:UNUSED_PAD src0_sel:WORD_1 src1_sel:WORD_1
	v_sub_f16_sdwa v173, v173, v175 dst_sel:DWORD dst_unused:UNUSED_PAD src0_sel:WORD_1 src1_sel:WORD_1
	v_fmac_f16_e32 v184, 0xb8b4, v160
	v_fmac_f16_e32 v161, 0x38b4, v160
	v_add_f16_e32 v74, v79, v75
	v_fmamk_f16 v75, v176, 0xbb9c, v71
	v_fmac_f16_e32 v71, 0x3b9c, v176
	v_fmac_f16_e32 v184, 0x34f2, v80
	;; [unrolled: 1-line block ×3, first 2 shown]
	v_fma_f16 v80, -0.5, v131, v185
	v_fmac_f16_e32 v185, -0.5, v77
	v_fmamk_f16 v77, v164, 0x3b9c, v73
	v_fmac_f16_e32 v73, 0xbb9c, v164
	v_add_f16_e32 v79, v171, v173
	v_fmac_f16_e32 v71, 0xb8b4, v180
	v_add_f16_e32 v169, v172, v182
	v_fmac_f16_e32 v75, 0x38b4, v180
	v_fmac_f16_e32 v73, 0x38b4, v178
	v_fmamk_f16 v131, v158, 0xbb9c, v185
	v_fmac_f16_e32 v71, 0x34f2, v79
	v_fmac_f16_e32 v185, 0x3b9c, v158
	;; [unrolled: 1-line block ×5, first 2 shown]
	v_mul_f16_e32 v79, 0xbb9c, v71
	v_mul_f16_e32 v171, 0xb4f2, v71
	v_fmamk_f16 v71, v180, 0x3b9c, v167
	v_add_f16_e32 v172, v177, v183
	v_add_f16_e32 v170, v170, v181
	v_fmac_f16_e32 v79, 0xb4f2, v73
	v_fmac_f16_e32 v171, 0x3b9c, v73
	v_fmamk_f16 v73, v178, 0xbb9c, v186
	v_fmac_f16_e32 v71, 0x38b4, v176
	v_fmac_f16_e32 v167, 0xbb9c, v180
	;; [unrolled: 1-line block ×6, first 2 shown]
	v_mul_f16_e32 v169, 0xbb9c, v75
	v_mul_f16_e32 v75, 0x34f2, v75
	v_fmac_f16_e32 v71, 0x34f2, v172
	v_fmac_f16_e32 v73, 0x34f2, v170
	;; [unrolled: 1-line block ×4, first 2 shown]
	v_add_f16_e32 v78, v78, v163
	v_fmamk_f16 v163, v160, 0xbb9c, v165
	v_fmamk_f16 v173, v162, 0x3b9c, v80
	v_fmac_f16_e32 v185, 0x34f2, v74
	v_fmac_f16_e32 v131, 0x34f2, v74
	;; [unrolled: 1-line block ×3, first 2 shown]
	v_mul_f16_e32 v174, 0xb8b4, v71
	v_add_f16_e32 v159, v159, v166
	v_mul_f16_e32 v166, 0x38b4, v73
	v_fmac_f16_e32 v75, 0x3b9c, v77
	v_fmac_f16_e32 v165, 0x3b9c, v160
	;; [unrolled: 1-line block ×7, first 2 shown]
	v_add_f16_e32 v74, v161, v79
	v_fmac_f16_e32 v174, 0x3a79, v73
	v_fmac_f16_e32 v166, 0x3a79, v71
	v_add_f16_e32 v71, v185, v171
	v_add_f16_e32 v73, v184, v169
	;; [unrolled: 1-line block ×3, first 2 shown]
	v_fmac_f16_e32 v165, 0x38b4, v76
	v_fmac_f16_e32 v80, 0xb8b4, v158
	;; [unrolled: 1-line block ×3, first 2 shown]
	v_mul_f16_e32 v158, 0xb8b4, v167
	v_mul_f16_e32 v160, 0xba79, v167
	v_fmac_f16_e32 v163, 0x34f2, v78
	v_fmac_f16_e32 v173, 0x34f2, v159
	v_pk_add_f16 v175, v72, v175
	v_pack_b32_f16 v72, v74, v71
	v_pack_b32_f16 v71, v73, v77
	v_sub_f16_e32 v77, v184, v169
	v_sub_f16_e32 v75, v131, v75
	v_fmac_f16_e32 v165, 0x34f2, v78
	v_fmac_f16_e32 v80, 0x34f2, v159
	;; [unrolled: 1-line block ×4, first 2 shown]
	v_add_f16_e32 v177, v163, v174
	v_add_f16_e32 v179, v173, v166
	v_sub_f16_e32 v78, v163, v174
	v_sub_f16_e32 v131, v173, v166
	v_pack_b32_f16 v76, v77, v75
	v_add_f16_e32 v77, v165, v158
	v_add_f16_e32 v159, v80, v160
	v_sub_f16_e32 v79, v161, v79
	v_sub_f16_e32 v158, v165, v158
	;; [unrolled: 1-line block ×4, first 2 shown]
	v_pack_b32_f16 v74, v177, v179
	v_pk_add_f16 v73, v168, v175
	v_pack_b32_f16 v75, v78, v131
	v_pk_add_f16 v78, v168, v175 neg_lo:[0,1] neg_hi:[0,1]
	v_pack_b32_f16 v77, v77, v159
	v_pack_b32_f16 v80, v158, v80
	;; [unrolled: 1-line block ×3, first 2 shown]
	ds_write2_b64 v130, v[154:155], v[53:54] offset0:2 offset1:3
	ds_write_b64 v130, v[156:157] offset:32
	ds_write2_b64 v134, v[73:74], v[71:72] offset1:1
	ds_write2_b64 v134, v[77:78], v[75:76] offset0:2 offset1:3
	ds_write_b64 v134, v[79:80] offset:32
	s_waitcnt lgkmcnt(0)
	s_barrier
	buffer_gl0_inv
	ds_read2_b32 v[53:54], v107 offset0:104 offset1:204
	ds_read2_b32 v[71:72], v120 offset0:80 offset1:180
	;; [unrolled: 1-line block ×3, first 2 shown]
	s_waitcnt lgkmcnt(2)
	v_lshrrev_b32_e32 v77, 16, v53
	v_mul_f16_sdwa v75, v49, v53 dst_sel:DWORD dst_unused:UNUSED_PAD src0_sel:WORD_1 src1_sel:DWORD
	s_waitcnt lgkmcnt(1)
	v_lshrrev_b32_e32 v79, 16, v71
	v_lshrrev_b32_e32 v154, 16, v72
	;; [unrolled: 1-line block ×3, first 2 shown]
	v_mul_f16_sdwa v130, v50, v71 dst_sel:DWORD dst_unused:UNUSED_PAD src0_sel:WORD_1 src1_sel:DWORD
	v_fma_f16 v78, v49, v77, -v75
	ds_read2_b32 v[75:76], v101 offset0:152 offset1:252
	v_mul_f16_sdwa v77, v49, v77 dst_sel:DWORD dst_unused:UNUSED_PAD src0_sel:WORD_1 src1_sel:DWORD
	v_mul_f16_sdwa v131, v50, v79 dst_sel:DWORD dst_unused:UNUSED_PAD src0_sel:WORD_1 src1_sel:DWORD
	;; [unrolled: 1-line block ×3, first 2 shown]
	v_fma_f16 v79, v50, v79, -v130
	s_waitcnt lgkmcnt(1)
	v_mul_f16_sdwa v130, v59, v73 dst_sel:DWORD dst_unused:UNUSED_PAD src0_sel:WORD_1 src1_sel:DWORD
	v_fmac_f16_e32 v77, v49, v53
	v_fmac_f16_e32 v131, v50, v71
	v_mul_f16_sdwa v71, v52, v154 dst_sel:DWORD dst_unused:UNUSED_PAD src0_sel:WORD_1 src1_sel:DWORD
	v_mul_f16_sdwa v49, v51, v54 dst_sel:DWORD dst_unused:UNUSED_PAD src0_sel:WORD_1 src1_sel:DWORD
	;; [unrolled: 1-line block ×3, first 2 shown]
	v_fmac_f16_e32 v134, v51, v54
	v_lshrrev_b32_e32 v54, 16, v73
	v_fmac_f16_e32 v71, v52, v72
	v_fma_f16 v72, v51, v80, -v49
	ds_read2_b32 v[49:50], v122 offset0:120 offset1:220
	v_fma_f16 v80, v52, v154, -v53
	ds_read2_b32 v[51:52], v119 offset0:96 offset1:196
	v_lshrrev_b32_e32 v155, 16, v74
	v_mul_f16_sdwa v157, v59, v54 dst_sel:DWORD dst_unused:UNUSED_PAD src0_sel:WORD_1 src1_sel:DWORD
	s_waitcnt lgkmcnt(2)
	v_lshrrev_b32_e32 v53, 16, v75
	v_mul_f16_sdwa v154, v60, v75 dst_sel:DWORD dst_unused:UNUSED_PAD src0_sel:WORD_1 src1_sel:DWORD
	v_lshrrev_b32_e32 v156, 16, v76
	v_fma_f16 v130, v59, v54, -v130
	v_mul_f16_sdwa v159, v57, v155 dst_sel:DWORD dst_unused:UNUSED_PAD src0_sel:WORD_1 src1_sel:DWORD
	v_mul_f16_sdwa v158, v60, v53 dst_sel:DWORD dst_unused:UNUSED_PAD src0_sel:WORD_1 src1_sel:DWORD
	v_fma_f16 v154, v60, v53, -v154
	v_mul_f16_sdwa v53, v57, v74 dst_sel:DWORD dst_unused:UNUSED_PAD src0_sel:WORD_1 src1_sel:DWORD
	v_mul_f16_sdwa v160, v58, v156 dst_sel:DWORD dst_unused:UNUSED_PAD src0_sel:WORD_1 src1_sel:DWORD
	v_fmac_f16_e32 v157, v59, v73
	v_fmac_f16_e32 v158, v60, v75
	v_mul_f16_sdwa v59, v58, v76 dst_sel:DWORD dst_unused:UNUSED_PAD src0_sel:WORD_1 src1_sel:DWORD
	v_fma_f16 v73, v57, v155, -v53
	ds_read2_b32 v[53:54], v104 offset0:64 offset1:164
	v_fmac_f16_e32 v159, v57, v74
	s_waitcnt lgkmcnt(2)
	v_lshrrev_b32_e32 v60, 16, v49
	v_fmac_f16_e32 v160, v58, v76
	v_fma_f16 v75, v58, v156, -v59
	ds_read2_b32 v[57:58], v114 offset0:40 offset1:140
	s_waitcnt lgkmcnt(2)
	v_lshrrev_b32_e32 v59, 16, v51
	v_lshrrev_b32_e32 v155, 16, v50
	v_lshrrev_b32_e32 v156, 16, v52
	v_mul_f16_sdwa v161, v69, v60 dst_sel:DWORD dst_unused:UNUSED_PAD src0_sel:WORD_1 src1_sel:DWORD
	v_mul_f16_sdwa v74, v69, v49 dst_sel:DWORD dst_unused:UNUSED_PAD src0_sel:WORD_1 src1_sel:DWORD
	;; [unrolled: 1-line block ×6, first 2 shown]
	v_fmac_f16_e32 v161, v69, v49
	v_mul_f16_sdwa v49, v67, v50 dst_sel:DWORD dst_unused:UNUSED_PAD src0_sel:WORD_1 src1_sel:DWORD
	v_fma_f16 v76, v70, v59, -v76
	v_fmac_f16_e32 v162, v70, v51
	v_fmac_f16_e32 v163, v67, v50
	;; [unrolled: 1-line block ×3, first 2 shown]
	v_mul_f16_sdwa v59, v68, v52 dst_sel:DWORD dst_unused:UNUSED_PAD src0_sel:WORD_1 src1_sel:DWORD
	v_fma_f16 v67, v67, v155, -v49
	ds_read2_b32 v[49:50], v121 offset0:8 offset1:108
	ds_read2_b32 v[51:52], v98 offset0:112 offset1:212
	v_fma_f16 v74, v69, v60, -v74
	s_waitcnt lgkmcnt(3)
	v_lshrrev_b32_e32 v60, 16, v53
	v_mul_f16_sdwa v69, v63, v53 dst_sel:DWORD dst_unused:UNUSED_PAD src0_sel:WORD_1 src1_sel:DWORD
	s_waitcnt lgkmcnt(2)
	v_lshrrev_b32_e32 v70, 16, v57
	v_mul_f16_sdwa v155, v64, v57 dst_sel:DWORD dst_unused:UNUSED_PAD src0_sel:WORD_1 src1_sel:DWORD
	v_fma_f16 v68, v68, v156, -v59
	v_mul_f16_sdwa v156, v63, v60 dst_sel:DWORD dst_unused:UNUSED_PAD src0_sel:WORD_1 src1_sel:DWORD
	v_fma_f16 v69, v63, v60, -v69
	v_lshrrev_b32_e32 v165, 16, v54
	ds_read2_b32 v[59:60], v116 offset1:100
	v_fma_f16 v155, v64, v70, -v155
	v_lshrrev_b32_e32 v166, 16, v58
	v_mul_f16_sdwa v70, v64, v70 dst_sel:DWORD dst_unused:UNUSED_PAD src0_sel:WORD_1 src1_sel:DWORD
	v_fmac_f16_e32 v156, v63, v53
	v_mul_f16_sdwa v63, v65, v165 dst_sel:DWORD dst_unused:UNUSED_PAD src0_sel:WORD_1 src1_sel:DWORD
	v_mul_f16_sdwa v53, v65, v54 dst_sel:DWORD dst_unused:UNUSED_PAD src0_sel:WORD_1 src1_sel:DWORD
	;; [unrolled: 1-line block ×4, first 2 shown]
	v_fmac_f16_e32 v70, v64, v57
	v_fmac_f16_e32 v63, v65, v54
	v_fma_f16 v57, v65, v165, -v53
	s_waitcnt lgkmcnt(2)
	v_lshrrev_b32_e32 v53, 16, v49
	s_waitcnt lgkmcnt(1)
	v_lshrrev_b32_e32 v54, 16, v51
	v_fmac_f16_e32 v167, v66, v58
	v_fma_f16 v58, v66, v166, -v168
	v_mul_f16_sdwa v64, v61, v49 dst_sel:DWORD dst_unused:UNUSED_PAD src0_sel:WORD_1 src1_sel:DWORD
	v_mul_f16_sdwa v165, v61, v53 dst_sel:DWORD dst_unused:UNUSED_PAD src0_sel:WORD_1 src1_sel:DWORD
	;; [unrolled: 1-line block ×3, first 2 shown]
	v_lshrrev_b32_e32 v65, 16, v50
	v_mul_f16_sdwa v66, v62, v51 dst_sel:DWORD dst_unused:UNUSED_PAD src0_sel:WORD_1 src1_sel:DWORD
	v_fma_f16 v64, v61, v53, -v64
	v_fmac_f16_e32 v165, v61, v49
	v_fmac_f16_e32 v166, v62, v51
	s_waitcnt lgkmcnt(0)
	v_lshrrev_b32_e32 v61, 16, v59
	v_add_f16_e32 v51, v78, v79
	v_mul_f16_sdwa v168, v55, v65 dst_sel:DWORD dst_unused:UNUSED_PAD src0_sel:WORD_1 src1_sel:DWORD
	v_fma_f16 v66, v62, v54, -v66
	v_lshrrev_b32_e32 v49, 16, v52
	v_add_f16_e32 v53, v77, v131
	v_add_f16_e32 v54, v61, v78
	v_fmac_f16_e32 v61, -0.5, v51
	v_add_f16_e32 v51, v59, v77
	v_fmac_f16_e32 v168, v55, v50
	v_mul_f16_sdwa v50, v55, v50 dst_sel:DWORD dst_unused:UNUSED_PAD src0_sel:WORD_1 src1_sel:DWORD
	v_mul_f16_sdwa v62, v56, v49 dst_sel:DWORD dst_unused:UNUSED_PAD src0_sel:WORD_1 src1_sel:DWORD
	v_fma_f16 v59, -0.5, v53, v59
	v_mul_f16_sdwa v53, v56, v52 dst_sel:DWORD dst_unused:UNUSED_PAD src0_sel:WORD_1 src1_sel:DWORD
	v_add_f16_e32 v54, v54, v79
	v_add_f16_e32 v51, v51, v131
	v_sub_f16_e32 v78, v78, v79
	v_sub_f16_e32 v77, v77, v131
	v_fmac_f16_e32 v62, v56, v52
	v_fma_f16 v65, v55, v65, -v50
	v_fma_f16 v169, v56, v49, -v53
	v_pack_b32_f16 v170, v51, v54
	ds_read2_b32 v[49:50], v126 offset0:72 offset1:172
	ds_read2_b32 v[51:52], v110 offset0:144 offset1:244
	;; [unrolled: 1-line block ×4, first 2 shown]
	v_fmamk_f16 v79, v78, 0xbaee, v59
	v_fmamk_f16 v131, v77, 0x3aee, v61
	v_fmac_f16_e32 v59, 0x3aee, v78
	v_add_f16_e32 v78, v134, v71
	v_fmac_f16_e32 v61, 0xbaee, v77
	v_lshrrev_b32_e32 v77, 16, v60
	v_pack_b32_f16 v79, v79, v131
	v_add_f16_e32 v131, v72, v80
	v_add_f16_e32 v171, v60, v134
	v_fmac_f16_e32 v60, -0.5, v78
	v_sub_f16_e32 v78, v72, v80
	v_add_f16_e32 v72, v77, v72
	v_fmac_f16_e32 v77, -0.5, v131
	v_sub_f16_e32 v131, v134, v71
	s_waitcnt lgkmcnt(0)
	s_barrier
	buffer_gl0_inv
	v_pack_b32_f16 v59, v59, v61
	v_fmamk_f16 v61, v78, 0xbaee, v60
	v_fmac_f16_e32 v60, 0x3aee, v78
	v_fmamk_f16 v78, v131, 0x3aee, v77
	v_fmac_f16_e32 v77, 0xbaee, v131
	v_add_f16_e32 v71, v171, v71
	v_add_f16_e32 v72, v72, v80
	ds_write2_b32 v133, v170, v79 offset1:10
	v_lshrrev_b32_e32 v79, 16, v49
	ds_write_b32 v133, v59 offset:80
	v_pack_b32_f16 v59, v60, v77
	v_pack_b32_f16 v60, v71, v72
	v_add_f16_e32 v72, v130, v154
	v_add_f16_e32 v71, v79, v130
	v_add_f16_e32 v77, v49, v157
	v_pack_b32_f16 v61, v61, v78
	v_add_f16_e32 v78, v157, v158
	v_fmac_f16_e32 v79, -0.5, v72
	v_add_f16_e32 v71, v71, v154
	v_add_f16_e32 v72, v77, v158
	v_sub_f16_e32 v77, v157, v158
	v_sub_f16_e32 v80, v130, v154
	v_fma_f16 v49, -0.5, v78, v49
	ds_write2_b32 v135, v60, v61 offset1:10
	ds_write_b32 v135, v59 offset:80
	v_pack_b32_f16 v59, v72, v71
	v_fmamk_f16 v61, v77, 0x3aee, v79
	v_add_f16_e32 v71, v159, v160
	v_fmac_f16_e32 v79, 0xbaee, v77
	v_lshrrev_b32_e32 v72, 16, v50
	v_add_f16_e32 v77, v73, v75
	v_fmamk_f16 v60, v80, 0xbaee, v49
	v_add_f16_e32 v78, v50, v159
	v_fmac_f16_e32 v50, -0.5, v71
	v_sub_f16_e32 v71, v73, v75
	v_add_f16_e32 v73, v72, v73
	v_fmac_f16_e32 v72, -0.5, v77
	v_sub_f16_e32 v77, v159, v160
	v_fmac_f16_e32 v49, 0x3aee, v80
	v_pack_b32_f16 v60, v60, v61
	v_fmamk_f16 v61, v71, 0xbaee, v50
	v_fmac_f16_e32 v50, 0x3aee, v71
	v_fmamk_f16 v71, v77, 0x3aee, v72
	v_fmac_f16_e32 v72, 0xbaee, v77
	v_pack_b32_f16 v49, v49, v79
	v_add_f16_e32 v77, v78, v160
	v_add_f16_e32 v73, v73, v75
	ds_write2_b32 v137, v59, v60 offset1:10
	ds_write_b32 v137, v49 offset:80
	v_pack_b32_f16 v49, v50, v72
	v_lshrrev_b32_e32 v50, 16, v51
	v_add_f16_e32 v60, v74, v76
	v_pack_b32_f16 v61, v61, v71
	v_add_f16_e32 v71, v161, v162
	v_pack_b32_f16 v59, v77, v73
	v_add_f16_e32 v72, v50, v74
	v_sub_f16_e32 v73, v74, v76
	v_fmac_f16_e32 v50, -0.5, v60
	v_add_f16_e32 v60, v51, v161
	v_fma_f16 v51, -0.5, v71, v51
	v_sub_f16_e32 v71, v161, v162
	ds_write2_b32 v138, v59, v61 offset1:10
	v_add_f16_e32 v59, v72, v76
	v_add_f16_e32 v60, v60, v162
	v_fmamk_f16 v61, v73, 0xbaee, v51
	v_fmamk_f16 v72, v71, 0x3aee, v50
	v_fmac_f16_e32 v51, 0x3aee, v73
	v_fmac_f16_e32 v50, 0xbaee, v71
	ds_write_b32 v138, v49 offset:80
	v_pack_b32_f16 v49, v60, v59
	v_pack_b32_f16 v59, v61, v72
	v_add_f16_e32 v60, v163, v164
	v_pack_b32_f16 v50, v51, v50
	v_lshrrev_b32_e32 v51, 16, v52
	v_add_f16_e32 v61, v67, v68
	v_add_f16_e32 v71, v52, v163
	v_fmac_f16_e32 v52, -0.5, v60
	v_sub_f16_e32 v60, v67, v68
	v_add_f16_e32 v67, v51, v67
	v_fmac_f16_e32 v51, -0.5, v61
	v_sub_f16_e32 v61, v163, v164
	ds_write2_b32 v141, v49, v59 offset1:10
	ds_write_b32 v141, v50 offset:80
	v_fmamk_f16 v49, v60, 0xbaee, v52
	v_fmac_f16_e32 v52, 0x3aee, v60
	v_lshrrev_b32_e32 v59, 16, v53
	v_fmamk_f16 v50, v61, 0x3aee, v51
	v_fmac_f16_e32 v51, 0xbaee, v61
	v_add_f16_e32 v60, v69, v155
	v_add_f16_e32 v61, v71, v164
	;; [unrolled: 1-line block ×4, first 2 shown]
	v_sub_f16_e32 v69, v69, v155
	v_fmac_f16_e32 v59, -0.5, v60
	v_add_f16_e32 v60, v53, v156
	v_fma_f16 v53, -0.5, v71, v53
	v_sub_f16_e32 v71, v156, v70
	v_add_f16_e32 v67, v67, v68
	v_add_f16_e32 v68, v72, v155
	;; [unrolled: 1-line block ×3, first 2 shown]
	v_fmamk_f16 v70, v69, 0xbaee, v53
	v_fmamk_f16 v72, v71, 0x3aee, v59
	v_pack_b32_f16 v51, v52, v51
	v_pack_b32_f16 v52, v61, v67
	;; [unrolled: 1-line block ×5, first 2 shown]
	v_fmac_f16_e32 v53, 0x3aee, v69
	v_fmac_f16_e32 v59, 0xbaee, v71
	ds_write2_b32 v139, v52, v49 offset1:10
	ds_write_b32 v139, v51 offset:80
	ds_write2_b32 v142, v50, v60 offset1:10
	v_add_f16_e32 v49, v63, v167
	v_lshrrev_b32_e32 v51, 16, v54
	v_add_f16_e32 v52, v57, v58
	v_pack_b32_f16 v50, v53, v59
	v_add_f16_e32 v53, v54, v63
	v_fmac_f16_e32 v54, -0.5, v49
	v_sub_f16_e32 v49, v57, v58
	v_add_f16_e32 v57, v51, v57
	v_fmac_f16_e32 v51, -0.5, v52
	v_sub_f16_e32 v52, v63, v167
	ds_write_b32 v142, v50 offset:80
	v_fmamk_f16 v50, v49, 0xbaee, v54
	v_add_f16_e32 v53, v53, v167
	v_add_f16_e32 v57, v57, v58
	v_fmamk_f16 v58, v52, 0x3aee, v51
	v_lshrrev_b32_e32 v59, 16, v55
	v_fmac_f16_e32 v54, 0x3aee, v49
	v_fmac_f16_e32 v51, 0xbaee, v52
	v_pack_b32_f16 v49, v53, v57
	v_pack_b32_f16 v50, v50, v58
	v_add_f16_e32 v52, v59, v64
	v_add_f16_e32 v53, v64, v66
	;; [unrolled: 1-line block ×4, first 2 shown]
	v_sub_f16_e32 v60, v64, v66
	v_add_f16_e32 v52, v52, v66
	v_fmac_f16_e32 v59, -0.5, v53
	v_add_f16_e32 v53, v57, v166
	v_fma_f16 v55, -0.5, v58, v55
	v_sub_f16_e32 v57, v165, v166
	v_pack_b32_f16 v51, v54, v51
	ds_write2_b32 v140, v49, v50 offset1:10
	v_pack_b32_f16 v49, v53, v52
	v_fmamk_f16 v50, v60, 0xbaee, v55
	v_add_f16_e32 v53, v168, v62
	v_fmac_f16_e32 v55, 0x3aee, v60
	v_lshrrev_b32_e32 v54, 16, v56
	v_add_f16_e32 v60, v65, v169
	v_fmamk_f16 v52, v57, 0x3aee, v59
	v_add_f16_e32 v58, v56, v168
	v_fmac_f16_e32 v56, -0.5, v53
	v_sub_f16_e32 v53, v65, v169
	v_fmac_f16_e32 v59, 0xbaee, v57
	v_add_f16_e32 v57, v54, v65
	v_fmac_f16_e32 v54, -0.5, v60
	v_sub_f16_e32 v60, v168, v62
	v_fmamk_f16 v61, v53, 0xbaee, v56
	v_fmac_f16_e32 v56, 0x3aee, v53
	v_add_f16_e32 v53, v58, v62
	v_add_f16_e32 v57, v57, v169
	v_fmamk_f16 v58, v60, 0x3aee, v54
	v_fmac_f16_e32 v54, 0xbaee, v60
	v_pack_b32_f16 v50, v50, v52
	v_pack_b32_f16 v52, v55, v59
	;; [unrolled: 1-line block ×5, first 2 shown]
	ds_write_b32 v140, v51 offset:80
	ds_write2_b32 v144, v49, v50 offset1:10
	ds_write_b32 v144, v52 offset:80
	ds_write2_b32 v145, v53, v55 offset1:10
	ds_write_b32 v145, v54 offset:80
	s_waitcnt lgkmcnt(0)
	s_barrier
	buffer_gl0_inv
	ds_read2_b32 v[49:50], v126 offset0:72 offset1:172
	ds_read2_b32 v[51:52], v125 offset0:88 offset1:188
	;; [unrolled: 1-line block ×8, first 2 shown]
	s_waitcnt lgkmcnt(7)
	v_lshrrev_b32_e32 v53, 16, v50
	s_waitcnt lgkmcnt(6)
	v_lshrrev_b32_e32 v61, 16, v51
	v_mul_f16_sdwa v62, v29, v51 dst_sel:DWORD dst_unused:UNUSED_PAD src0_sel:WORD_1 src1_sel:DWORD
	v_mul_f16_sdwa v54, v28, v50 dst_sel:DWORD dst_unused:UNUSED_PAD src0_sel:WORD_1 src1_sel:DWORD
	s_waitcnt lgkmcnt(4)
	v_lshrrev_b32_e32 v63, 16, v55
	v_mul_f16_sdwa v57, v28, v53 dst_sel:DWORD dst_unused:UNUSED_PAD src0_sel:WORD_1 src1_sel:DWORD
	v_mul_f16_sdwa v66, v29, v61 dst_sel:DWORD dst_unused:UNUSED_PAD src0_sel:WORD_1 src1_sel:DWORD
	v_fma_f16 v64, v29, v61, -v62
	ds_read2_b32 v[61:62], v110 offset0:144 offset1:244
	v_fma_f16 v58, v28, v53, -v54
	v_lshrrev_b32_e32 v53, 16, v60
	v_mul_f16_sdwa v54, v30, v60 dst_sel:DWORD dst_unused:UNUSED_PAD src0_sel:WORD_1 src1_sel:DWORD
	v_mul_f16_sdwa v65, v31, v55 dst_sel:DWORD dst_unused:UNUSED_PAD src0_sel:WORD_1 src1_sel:DWORD
	;; [unrolled: 1-line block ×3, first 2 shown]
	v_lshrrev_b32_e32 v73, 16, v52
	v_mul_f16_sdwa v68, v30, v53 dst_sel:DWORD dst_unused:UNUSED_PAD src0_sel:WORD_1 src1_sel:DWORD
	v_fma_f16 v67, v30, v53, -v54
	v_fma_f16 v69, v31, v63, -v65
	v_lshrrev_b32_e32 v63, 16, v56
	v_fmac_f16_e32 v57, v28, v50
	v_fmac_f16_e32 v68, v30, v60
	;; [unrolled: 1-line block ×3, first 2 shown]
	v_mul_f16_sdwa v28, v21, v52 dst_sel:DWORD dst_unused:UNUSED_PAD src0_sel:WORD_1 src1_sel:DWORD
	v_mul_f16_sdwa v53, v21, v73 dst_sel:DWORD dst_unused:UNUSED_PAD src0_sel:WORD_1 src1_sel:DWORD
	v_fmac_f16_e32 v66, v29, v51
	v_mul_f16_sdwa v54, v23, v63 dst_sel:DWORD dst_unused:UNUSED_PAD src0_sel:WORD_1 src1_sel:DWORD
	v_mul_f16_sdwa v29, v23, v56 dst_sel:DWORD dst_unused:UNUSED_PAD src0_sel:WORD_1 src1_sel:DWORD
	v_fma_f16 v51, v21, v73, -v28
	s_waitcnt lgkmcnt(0)
	v_lshrrev_b32_e32 v30, 16, v61
	v_mul_f16_sdwa v31, v20, v61 dst_sel:DWORD dst_unused:UNUSED_PAD src0_sel:WORD_1 src1_sel:DWORD
	ds_read2_b32 v[73:74], v122 offset0:120 offset1:220
	v_fmac_f16_e32 v53, v21, v52
	v_fmac_f16_e32 v54, v23, v56
	v_fma_f16 v52, v23, v63, -v29
	v_fma_f16 v50, v20, v30, -v31
	v_mul_f16_sdwa v31, v20, v30 dst_sel:DWORD dst_unused:UNUSED_PAD src0_sel:WORD_1 src1_sel:DWORD
	v_lshrrev_b32_e32 v21, 16, v71
	v_mul_f16_sdwa v23, v22, v71 dst_sel:DWORD dst_unused:UNUSED_PAD src0_sel:WORD_1 src1_sel:DWORD
	v_lshrrev_b32_e32 v28, 16, v62
	v_lshrrev_b32_e32 v29, 16, v59
	v_fmac_f16_e32 v31, v20, v61
	ds_read2_b32 v[60:61], v121 offset0:8 offset1:108
	v_fma_f16 v55, v22, v21, -v23
	v_mul_f16_sdwa v20, v4, v28 dst_sel:DWORD dst_unused:UNUSED_PAD src0_sel:WORD_1 src1_sel:DWORD
	v_mul_f16_sdwa v23, v5, v29 dst_sel:DWORD dst_unused:UNUSED_PAD src0_sel:WORD_1 src1_sel:DWORD
	;; [unrolled: 1-line block ×3, first 2 shown]
	v_lshrrev_b32_e32 v30, 16, v72
	v_mul_f16_sdwa v21, v4, v62 dst_sel:DWORD dst_unused:UNUSED_PAD src0_sel:WORD_1 src1_sel:DWORD
	v_fmac_f16_e32 v20, v4, v62
	v_fmac_f16_e32 v23, v5, v59
	v_mul_f16_sdwa v59, v5, v59 dst_sel:DWORD dst_unused:UNUSED_PAD src0_sel:WORD_1 src1_sel:DWORD
	ds_read2_b32 v[62:63], v119 offset0:96 offset1:196
	v_fmac_f16_e32 v56, v22, v71
	v_mul_f16_sdwa v22, v6, v30 dst_sel:DWORD dst_unused:UNUSED_PAD src0_sel:WORD_1 src1_sel:DWORD
	v_mul_f16_sdwa v65, v6, v72 dst_sel:DWORD dst_unused:UNUSED_PAD src0_sel:WORD_1 src1_sel:DWORD
	v_fma_f16 v21, v4, v28, -v21
	s_waitcnt lgkmcnt(2)
	v_lshrrev_b32_e32 v4, 16, v73
	v_lshrrev_b32_e32 v71, 16, v74
	v_fma_f16 v28, v5, v29, -v59
	v_mul_f16_sdwa v5, v7, v73 dst_sel:DWORD dst_unused:UNUSED_PAD src0_sel:WORD_1 src1_sel:DWORD
	v_fmac_f16_e32 v22, v6, v72
	v_fma_f16 v6, v6, v30, -v65
	v_mul_f16_sdwa v30, v7, v4 dst_sel:DWORD dst_unused:UNUSED_PAD src0_sel:WORD_1 src1_sel:DWORD
	v_mul_f16_sdwa v72, v16, v71 dst_sel:DWORD dst_unused:UNUSED_PAD src0_sel:WORD_1 src1_sel:DWORD
	s_waitcnt lgkmcnt(1)
	v_lshrrev_b32_e32 v65, 16, v60
	v_mul_f16_sdwa v75, v17, v60 dst_sel:DWORD dst_unused:UNUSED_PAD src0_sel:WORD_1 src1_sel:DWORD
	v_fma_f16 v29, v7, v4, -v5
	v_lshrrev_b32_e32 v4, 16, v80
	v_mul_f16_sdwa v5, v18, v80 dst_sel:DWORD dst_unused:UNUSED_PAD src0_sel:WORD_1 src1_sel:DWORD
	v_mul_f16_sdwa v59, v16, v74 dst_sel:DWORD dst_unused:UNUSED_PAD src0_sel:WORD_1 src1_sel:DWORD
	v_fmac_f16_e32 v30, v7, v73
	v_fmac_f16_e32 v72, v16, v74
	v_fma_f16 v73, v17, v65, -v75
	v_fma_f16 v74, v18, v4, -v5
	v_mul_f16_sdwa v75, v18, v4 dst_sel:DWORD dst_unused:UNUSED_PAD src0_sel:WORD_1 src1_sel:DWORD
	ds_read2_b32 v[4:5], v114 offset0:40 offset1:140
	v_fma_f16 v71, v16, v71, -v59
	v_mul_f16_sdwa v76, v17, v65 dst_sel:DWORD dst_unused:UNUSED_PAD src0_sel:WORD_1 src1_sel:DWORD
	s_waitcnt lgkmcnt(1)
	v_lshrrev_b32_e32 v7, 16, v62
	v_mul_f16_sdwa v16, v19, v62 dst_sel:DWORD dst_unused:UNUSED_PAD src0_sel:WORD_1 src1_sel:DWORD
	v_lshrrev_b32_e32 v65, 16, v61
	v_lshrrev_b32_e32 v135, 16, v63
	v_fmac_f16_e32 v76, v17, v60
	v_mul_f16_sdwa v78, v19, v7 dst_sel:DWORD dst_unused:UNUSED_PAD src0_sel:WORD_1 src1_sel:DWORD
	v_fma_f16 v77, v19, v7, -v16
	v_mul_f16_sdwa v59, v25, v65 dst_sel:DWORD dst_unused:UNUSED_PAD src0_sel:WORD_1 src1_sel:DWORD
	v_mul_f16_sdwa v60, v27, v135 dst_sel:DWORD dst_unused:UNUSED_PAD src0_sel:WORD_1 src1_sel:DWORD
	;; [unrolled: 1-line block ×3, first 2 shown]
	v_lshrrev_b32_e32 v17, 16, v130
	v_fmac_f16_e32 v75, v18, v80
	v_fmac_f16_e32 v78, v19, v62
	;; [unrolled: 1-line block ×4, first 2 shown]
	v_mul_f16_sdwa v16, v27, v63 dst_sel:DWORD dst_unused:UNUSED_PAD src0_sel:WORD_1 src1_sel:DWORD
	v_mul_f16_sdwa v18, v24, v130 dst_sel:DWORD dst_unused:UNUSED_PAD src0_sel:WORD_1 src1_sel:DWORD
	v_fma_f16 v63, v25, v65, -v7
	v_lshrrev_b32_e32 v7, 16, v133
	v_mul_f16_sdwa v19, v26, v133 dst_sel:DWORD dst_unused:UNUSED_PAD src0_sel:WORD_1 src1_sel:DWORD
	v_lshrrev_b32_e32 v80, 16, v131
	v_mul_f16_sdwa v61, v24, v17 dst_sel:DWORD dst_unused:UNUSED_PAD src0_sel:WORD_1 src1_sel:DWORD
	v_fma_f16 v65, v27, v135, -v16
	v_fma_f16 v25, v24, v17, -v18
	;; [unrolled: 1-line block ×3, first 2 shown]
	v_lshrrev_b32_e32 v19, 16, v79
	v_mul_f16_sdwa v62, v26, v7 dst_sel:DWORD dst_unused:UNUSED_PAD src0_sel:WORD_1 src1_sel:DWORD
	v_mul_f16_sdwa v17, v0, v80 dst_sel:DWORD dst_unused:UNUSED_PAD src0_sel:WORD_1 src1_sel:DWORD
	v_fmac_f16_e32 v61, v24, v130
	v_mul_f16_sdwa v7, v0, v131 dst_sel:DWORD dst_unused:UNUSED_PAD src0_sel:WORD_1 src1_sel:DWORD
	s_waitcnt lgkmcnt(0)
	v_lshrrev_b32_e32 v130, 16, v5
	v_lshrrev_b32_e32 v135, 16, v134
	v_mul_f16_sdwa v18, v1, v19 dst_sel:DWORD dst_unused:UNUSED_PAD src0_sel:WORD_1 src1_sel:DWORD
	v_fmac_f16_e32 v62, v26, v133
	v_fmac_f16_e32 v17, v0, v131
	v_mul_f16_sdwa v26, v1, v79 dst_sel:DWORD dst_unused:UNUSED_PAD src0_sel:WORD_1 src1_sel:DWORD
	v_fma_f16 v7, v0, v80, -v7
	v_mul_f16_sdwa v24, v153, v130 dst_sel:DWORD dst_unused:UNUSED_PAD src0_sel:WORD_1 src1_sel:DWORD
	v_mul_f16_sdwa v0, v153, v5 dst_sel:DWORD dst_unused:UNUSED_PAD src0_sel:WORD_1 src1_sel:DWORD
	;; [unrolled: 1-line block ×3, first 2 shown]
	v_fmac_f16_e32 v18, v1, v79
	v_mul_f16_sdwa v79, v2, v134 dst_sel:DWORD dst_unused:UNUSED_PAD src0_sel:WORD_1 src1_sel:DWORD
	v_fma_f16 v19, v1, v19, -v26
	v_fmac_f16_e32 v24, v153, v5
	v_fma_f16 v5, v153, v130, -v0
	v_add_f16_e32 v0, v71, v74
	v_add_f16_e32 v1, v72, v75
	v_fmac_f16_e32 v16, v2, v134
	v_fma_f16 v2, v2, v135, -v79
	v_sub_f16_e32 v130, v68, v24
	v_fma_f16 v80, -0.5, v0, v58
	v_fma_f16 v79, -0.5, v1, v57
	ds_read2_b32 v[0:1], v116 offset1:100
	v_sub_f16_e32 v134, v67, v71
	v_sub_f16_e32 v135, v5, v74
	;; [unrolled: 1-line block ×3, first 2 shown]
	v_fmamk_f16 v142, v130, 0x3b9c, v80
	v_sub_f16_e32 v141, v72, v75
	v_sub_f16_e32 v133, v68, v72
	;; [unrolled: 1-line block ×3, first 2 shown]
	v_add_f16_e32 v138, v134, v135
	v_fmamk_f16 v144, v140, 0xbb9c, v79
	v_sub_f16_e32 v139, v71, v74
	v_fmac_f16_e32 v142, 0x38b4, v141
	v_sub_f16_e32 v131, v66, v70
	v_sub_f16_e32 v134, v78, v76
	v_add_f16_e32 v137, v133, v137
	v_fmac_f16_e32 v144, 0xb8b4, v139
	v_fmac_f16_e32 v142, 0x34f2, v138
	v_lshrrev_b32_e32 v26, 16, v4
	v_add_f16_e32 v135, v131, v134
	v_mul_f16_sdwa v145, v3, v4 dst_sel:DWORD dst_unused:UNUSED_PAD src0_sel:WORD_1 src1_sel:DWORD
	v_fmac_f16_e32 v144, 0x34f2, v137
	v_mul_f16_e32 v134, 0xb8b4, v142
	v_mul_f16_e32 v133, 0x3a79, v142
	s_waitcnt lgkmcnt(0)
	v_lshrrev_b32_e32 v131, 16, v0
	v_sub_f16_e32 v153, v64, v69
	v_sub_f16_e32 v154, v77, v73
	v_fmac_f16_e32 v134, 0x3a79, v144
	v_fmac_f16_e32 v133, 0x38b4, v144
	v_add_f16_e32 v144, v131, v64
	v_add_f16_e32 v155, v0, v66
	;; [unrolled: 1-line block ×4, first 2 shown]
	v_sub_f16_e32 v159, v66, v78
	v_add_f16_e32 v144, v144, v69
	v_add_f16_e32 v153, v155, v70
	v_fma_f16 v156, -0.5, v156, v0
	v_sub_f16_e32 v161, v69, v73
	v_sub_f16_e32 v163, v70, v76
	v_add_f16_e32 v144, v144, v73
	v_add_f16_e32 v155, v58, v67
	;; [unrolled: 1-line block ×3, first 2 shown]
	v_sub_f16_e32 v158, v64, v77
	v_add_f16_e32 v153, v153, v76
	v_add_f16_e32 v164, v144, v77
	v_mul_f16_sdwa v144, v3, v26 dst_sel:DWORD dst_unused:UNUSED_PAD src0_sel:WORD_1 src1_sel:DWORD
	v_fma_f16 v26, v3, v26, -v145
	v_add_f16_e32 v145, v66, v78
	v_sub_f16_e32 v66, v70, v66
	v_sub_f16_e32 v70, v76, v78
	;; [unrolled: 1-line block ×3, first 2 shown]
	v_add_f16_e32 v64, v64, v77
	v_fma_f16 v0, -0.5, v145, v0
	v_add_f16_e32 v154, v57, v68
	v_add_f16_e32 v66, v66, v70
	v_sub_f16_e32 v70, v73, v77
	v_add_f16_e32 v155, v155, v71
	v_fmamk_f16 v76, v161, 0x3b9c, v0
	v_fmac_f16_e32 v0, 0xbb9c, v161
	v_fma_f16 v157, -0.5, v157, v131
	v_fmac_f16_e32 v131, -0.5, v64
	v_add_f16_e32 v64, v69, v70
	v_fmac_f16_e32 v76, 0xb8b4, v158
	v_fmac_f16_e32 v0, 0x38b4, v158
	v_add_f16_e32 v70, v67, v5
	v_add_f16_e32 v154, v154, v72
	;; [unrolled: 1-line block ×3, first 2 shown]
	v_fmac_f16_e32 v76, 0x34f2, v66
	v_fmac_f16_e32 v0, 0x34f2, v66
	v_sub_f16_e32 v66, v72, v68
	v_add_f16_e32 v68, v68, v24
	v_fmac_f16_e32 v58, -0.5, v70
	v_add_f16_e32 v154, v154, v75
	v_add_f16_e32 v155, v155, v5
	v_sub_f16_e32 v67, v71, v67
	v_fmac_f16_e32 v57, -0.5, v68
	v_sub_f16_e32 v5, v74, v5
	v_fmamk_f16 v68, v141, 0xbb9c, v58
	v_add_f16_e32 v154, v154, v24
	v_fmamk_f16 v69, v163, 0xbb9c, v131
	v_fmac_f16_e32 v131, 0x3b9c, v163
	v_sub_f16_e32 v24, v75, v24
	v_fmamk_f16 v70, v139, 0x3b9c, v57
	v_fmac_f16_e32 v58, 0x3b9c, v141
	v_add_f16_e32 v5, v67, v5
	v_fmac_f16_e32 v68, 0x38b4, v130
	v_fmac_f16_e32 v69, 0x38b4, v159
	;; [unrolled: 1-line block ×3, first 2 shown]
	v_add_f16_e32 v24, v66, v24
	v_fmac_f16_e32 v57, 0xbb9c, v139
	v_fmac_f16_e32 v58, 0xb8b4, v130
	;; [unrolled: 1-line block ×9, first 2 shown]
	v_mul_f16_e32 v5, 0xbb9c, v68
	v_mul_f16_e32 v64, 0x34f2, v68
	v_fmac_f16_e32 v80, 0xbb9c, v130
	v_fmac_f16_e32 v57, 0x34f2, v24
	v_mul_f16_e32 v24, 0xbb9c, v58
	v_mul_f16_e32 v58, 0xb4f2, v58
	v_fmac_f16_e32 v5, 0x34f2, v70
	v_fmac_f16_e32 v64, 0x3b9c, v70
	;; [unrolled: 1-line block ×4, first 2 shown]
	v_fmamk_f16 v160, v158, 0xbb9c, v156
	v_fmamk_f16 v162, v159, 0x3b9c, v157
	v_fmac_f16_e32 v24, 0xb4f2, v57
	v_fmac_f16_e32 v58, 0x3b9c, v57
	v_add_f16_e32 v57, v76, v5
	v_add_f16_e32 v66, v69, v64
	v_fmac_f16_e32 v156, 0x3b9c, v158
	v_fmac_f16_e32 v157, 0xbb9c, v159
	;; [unrolled: 1-line block ×7, first 2 shown]
	ds_read2_b32 v[3:4], v98 offset0:112 offset1:212
	v_pack_b32_f16 v57, v57, v66
	v_fmac_f16_e32 v156, 0x38b4, v161
	v_fmac_f16_e32 v157, 0xb8b4, v163
	;; [unrolled: 1-line block ×3, first 2 shown]
	v_mul_f16_e32 v66, 0xb8b4, v80
	v_mul_f16_e32 v67, 0xba79, v80
	v_add_f16_e32 v153, v153, v78
	v_fmac_f16_e32 v160, 0x34f2, v135
	v_fmac_f16_e32 v162, 0x34f2, v142
	;; [unrolled: 1-line block ×6, first 2 shown]
	v_add_f16_e32 v165, v153, v154
	v_add_f16_e32 v166, v164, v155
	;; [unrolled: 1-line block ×6, first 2 shown]
	v_sub_f16_e32 v71, v153, v154
	v_sub_f16_e32 v72, v164, v155
	;; [unrolled: 1-line block ×6, first 2 shown]
	v_add_f16_e32 v73, v156, v66
	v_add_f16_e32 v74, v157, v67
	v_pack_b32_f16 v165, v165, v166
	v_pack_b32_f16 v166, v167, v168
	;; [unrolled: 1-line block ×7, first 2 shown]
	s_waitcnt lgkmcnt(0)
	s_barrier
	buffer_gl0_inv
	ds_write2_b32 v149, v165, v166 offset1:30
	ds_write2_b32 v149, v57, v68 offset0:60 offset1:90
	ds_write2_b32 v149, v69, v70 offset0:120 offset1:150
	v_lshrrev_b32_e32 v57, 16, v3
	ds_write2_b32 v149, v71, v5 offset0:180 offset1:210
	v_mul_f16_sdwa v5, v136, v3 dst_sel:DWORD dst_unused:UNUSED_PAD src0_sel:WORD_1 src1_sel:DWORD
	v_sub_f16_e32 v70, v55, v25
	v_sub_f16_e32 v0, v0, v24
	v_mul_f16_sdwa v64, v136, v57 dst_sel:DWORD dst_unused:UNUSED_PAD src0_sel:WORD_1 src1_sel:DWORD
	v_sub_f16_e32 v24, v156, v66
	v_fma_f16 v5, v136, v57, -v5
	v_add_f16_e32 v57, v25, v27
	v_sub_f16_e32 v66, v157, v67
	v_fmac_f16_e32 v64, v136, v3
	v_sub_f16_e32 v3, v53, v54
	v_sub_f16_e32 v72, v5, v27
	v_add_f16_e32 v67, v61, v62
	v_sub_f16_e32 v68, v56, v61
	v_fma_f16 v57, -0.5, v57, v50
	v_sub_f16_e32 v69, v56, v64
	v_sub_f16_e32 v75, v64, v62
	v_add_f16_e32 v70, v70, v72
	v_sub_f16_e32 v72, v60, v59
	v_fma_f16 v67, -0.5, v67, v31
	v_sub_f16_e32 v71, v55, v5
	v_fmamk_f16 v73, v69, 0x3b9c, v57
	v_sub_f16_e32 v74, v61, v62
	v_add_f16_e32 v68, v68, v75
	v_sub_f16_e32 v75, v51, v52
	v_sub_f16_e32 v78, v65, v63
	v_add_f16_e32 v3, v3, v72
	v_lshrrev_b32_e32 v72, 16, v1
	v_add_f16_e32 v133, v54, v59
	v_add_f16_e32 v134, v52, v63
	v_sub_f16_e32 v58, v131, v58
	v_fmamk_f16 v76, v71, 0xbb9c, v67
	v_sub_f16_e32 v77, v25, v27
	v_fmac_f16_e32 v73, 0x38b4, v74
	v_add_f16_e32 v75, v75, v78
	v_add_f16_e32 v78, v1, v53
	;; [unrolled: 1-line block ×5, first 2 shown]
	v_fma_f16 v133, -0.5, v133, v1
	v_sub_f16_e32 v135, v51, v65
	v_fma_f16 v134, -0.5, v134, v72
	v_sub_f16_e32 v136, v53, v60
	v_fmac_f16_e32 v76, 0xb8b4, v77
	v_fmac_f16_e32 v73, 0x34f2, v70
	v_add_f16_e32 v78, v78, v54
	v_add_f16_e32 v80, v80, v52
	;; [unrolled: 1-line block ×4, first 2 shown]
	v_fmamk_f16 v137, v135, 0xbb9c, v133
	v_sub_f16_e32 v138, v52, v63
	v_fmamk_f16 v139, v136, 0x3b9c, v134
	v_sub_f16_e32 v140, v54, v59
	v_fmac_f16_e32 v76, 0x34f2, v68
	v_mul_f16_e32 v79, 0xb8b4, v73
	v_mul_f16_e32 v73, 0x3a79, v73
	v_add_f16_e32 v78, v78, v59
	v_add_f16_e32 v80, v80, v63
	;; [unrolled: 1-line block ×4, first 2 shown]
	v_fmac_f16_e32 v137, 0xb8b4, v138
	v_fmac_f16_e32 v139, 0x38b4, v140
	v_add_f16_e32 v142, v53, v60
	v_fmac_f16_e32 v79, 0x3a79, v76
	v_add_f16_e32 v78, v78, v60
	v_add_f16_e32 v80, v80, v65
	;; [unrolled: 1-line block ×4, first 2 shown]
	v_fmac_f16_e32 v73, 0x38b4, v76
	v_fmac_f16_e32 v137, 0x34f2, v3
	;; [unrolled: 1-line block ×3, first 2 shown]
	v_fmac_f16_e32 v1, -0.5, v142
	v_add_f16_e32 v76, v78, v130
	v_add_f16_e32 v141, v80, v131
	;; [unrolled: 1-line block ×4, first 2 shown]
	v_pack_b32_f16 v0, v0, v58
	v_pack_b32_f16 v24, v24, v66
	v_sub_f16_e32 v53, v54, v53
	v_sub_f16_e32 v54, v59, v60
	v_fmamk_f16 v59, v138, 0x3b9c, v1
	v_fmac_f16_e32 v1, 0xbb9c, v138
	v_pack_b32_f16 v58, v76, v141
	v_pack_b32_f16 v66, v145, v149
	ds_write2_b32 v151, v0, v24 offset0:112 offset1:142
	ds_write2_b32 v143, v58, v66 offset1:30
	v_add_f16_e32 v0, v53, v54
	v_fmac_f16_e32 v59, 0xb8b4, v135
	v_fmac_f16_e32 v1, 0x38b4, v135
	v_sub_f16_e32 v24, v52, v51
	v_add_f16_e32 v51, v51, v65
	v_sub_f16_e32 v52, v63, v65
	v_fmac_f16_e32 v59, 0x34f2, v0
	v_fmac_f16_e32 v1, 0x34f2, v0
	v_add_f16_e32 v0, v55, v5
	v_fmac_f16_e32 v72, -0.5, v51
	v_add_f16_e32 v51, v56, v64
	v_sub_f16_e32 v25, v25, v55
	v_sub_f16_e32 v5, v27, v5
	v_fmac_f16_e32 v50, -0.5, v0
	v_add_f16_e32 v24, v24, v52
	v_fmac_f16_e32 v31, -0.5, v51
	v_sub_f16_e32 v52, v61, v56
	v_sub_f16_e32 v0, v62, v64
	v_fmamk_f16 v27, v74, 0xbb9c, v50
	v_add_f16_e32 v5, v25, v5
	v_fmamk_f16 v53, v77, 0x3b9c, v31
	v_fmac_f16_e32 v50, 0x3b9c, v74
	v_fmamk_f16 v51, v140, 0xbb9c, v72
	v_fmac_f16_e32 v27, 0x38b4, v69
	v_add_f16_e32 v0, v52, v0
	v_fmac_f16_e32 v53, 0xb8b4, v71
	v_fmac_f16_e32 v31, 0xbb9c, v77
	;; [unrolled: 1-line block ×8, first 2 shown]
	v_mul_f16_e32 v25, 0xbb9c, v27
	v_mul_f16_e32 v27, 0x34f2, v27
	v_fmac_f16_e32 v50, 0x34f2, v5
	v_fmac_f16_e32 v57, 0xbb9c, v69
	;; [unrolled: 1-line block ×7, first 2 shown]
	v_mul_f16_e32 v0, 0xbb9c, v50
	v_mul_f16_e32 v5, 0xb4f2, v50
	v_fmac_f16_e32 v67, 0x3b9c, v71
	v_fmac_f16_e32 v57, 0xb8b4, v74
	v_add_f16_e32 v50, v59, v25
	v_add_f16_e32 v52, v51, v27
	v_fmac_f16_e32 v72, 0x34f2, v24
	v_fmac_f16_e32 v0, 0xb4f2, v31
	;; [unrolled: 1-line block ×7, first 2 shown]
	v_pack_b32_f16 v24, v50, v52
	v_add_f16_e32 v31, v1, v0
	v_add_f16_e32 v50, v72, v5
	v_fmac_f16_e32 v133, 0x38b4, v138
	v_fmac_f16_e32 v134, 0xb8b4, v140
	;; [unrolled: 1-line block ×3, first 2 shown]
	v_mul_f16_e32 v52, 0xb8b4, v57
	v_mul_f16_e32 v53, 0xba79, v57
	v_pack_b32_f16 v31, v31, v50
	v_fmac_f16_e32 v133, 0x34f2, v3
	v_fmac_f16_e32 v134, 0x34f2, v75
	;; [unrolled: 1-line block ×4, first 2 shown]
	ds_write2_b32 v143, v24, v31 offset0:60 offset1:90
	v_sub_f16_e32 v25, v59, v25
	v_sub_f16_e32 v27, v51, v27
	v_add_f16_e32 v31, v133, v52
	v_add_f16_e32 v50, v134, v53
	v_mul_f16_sdwa v51, v129, v4 dst_sel:DWORD dst_unused:UNUSED_PAD src0_sel:WORD_1 src1_sel:DWORD
	v_sub_f16_e32 v0, v1, v0
	v_pack_b32_f16 v25, v25, v27
	v_sub_f16_e32 v1, v133, v52
	v_pack_b32_f16 v31, v31, v50
	v_lshrrev_b32_e32 v50, 16, v4
	v_sub_f16_e32 v52, v134, v53
	v_add_f16_e32 v53, v30, v18
	v_add_f16_e32 v57, v7, v2
	v_sub_f16_e32 v5, v72, v5
	v_mul_f16_sdwa v27, v129, v50 dst_sel:DWORD dst_unused:UNUSED_PAD src0_sel:WORD_1 src1_sel:DWORD
	v_sub_f16_e32 v59, v17, v22
	v_add_f16_e32 v62, v21, v6
	v_fma_f16 v57, -0.5, v57, v21
	v_sub_f16_e32 v63, v7, v6
	v_fmac_f16_e32 v27, v129, v4
	v_fma_f16 v4, v129, v50, -v51
	v_fma_f16 v50, -0.5, v53, v49
	v_add_f16_e32 v53, v17, v16
	v_sub_f16_e32 v3, v78, v130
	v_add_f16_e32 v56, v22, v27
	v_add_f16_e32 v61, v6, v4
	v_sub_f16_e32 v60, v16, v27
	v_sub_f16_e32 v64, v2, v4
	v_sub_f16_e32 v24, v80, v131
	v_sub_f16_e32 v54, v137, v79
	v_fmac_f16_e32 v21, -0.5, v61
	v_sub_f16_e32 v61, v17, v16
	v_sub_f16_e32 v55, v139, v73
	v_pack_b32_f16 v0, v0, v5
	v_add_f16_e32 v5, v23, v144
	v_fma_f16 v53, -0.5, v53, v20
	v_add_f16_e32 v58, v20, v22
	v_fmac_f16_e32 v20, -0.5, v56
	v_add_f16_e32 v56, v59, v60
	v_add_f16_e32 v59, v63, v64
	v_sub_f16_e32 v60, v7, v2
	v_fmamk_f16 v63, v61, 0xbb9c, v21
	v_fmac_f16_e32 v21, 0x3b9c, v61
	v_sub_f16_e32 v64, v22, v27
	v_pack_b32_f16 v3, v3, v24
	v_pack_b32_f16 v24, v54, v55
	v_lshrrev_b32_e32 v51, 16, v49
	v_add_f16_e32 v54, v49, v23
	v_fmac_f16_e32 v49, -0.5, v5
	v_sub_f16_e32 v65, v29, v19
	v_fmamk_f16 v66, v60, 0x3b9c, v20
	v_fmac_f16_e32 v20, 0xbb9c, v60
	v_sub_f16_e32 v67, v6, v4
	v_fmac_f16_e32 v21, 0xb8b4, v64
	v_sub_f16_e32 v69, v28, v26
	v_pack_b32_f16 v1, v1, v52
	v_sub_f16_e32 v5, v30, v23
	v_sub_f16_e32 v55, v18, v144
	v_fmamk_f16 v68, v65, 0x3b9c, v49
	v_fmac_f16_e32 v49, 0xbb9c, v65
	v_fmac_f16_e32 v20, 0x38b4, v67
	;; [unrolled: 1-line block ×3, first 2 shown]
	ds_write2_b32 v143, v31, v3 offset0:120 offset1:150
	ds_write2_b32 v143, v24, v25 offset0:180 offset1:210
	;; [unrolled: 1-line block ×3, first 2 shown]
	v_sub_f16_e32 v0, v23, v30
	v_sub_f16_e32 v1, v144, v18
	v_fmamk_f16 v3, v69, 0xbb9c, v50
	v_fmac_f16_e32 v50, 0x3b9c, v69
	v_add_f16_e32 v25, v54, v30
	v_add_f16_e32 v5, v5, v55
	v_fmac_f16_e32 v49, 0x38b4, v69
	v_fmac_f16_e32 v20, 0x34f2, v56
	v_mul_f16_e32 v52, 0xbb9c, v21
	v_add_f16_e32 v0, v0, v1
	v_fmac_f16_e32 v3, 0xb8b4, v65
	v_fmac_f16_e32 v50, 0x38b4, v65
	;; [unrolled: 1-line block ×3, first 2 shown]
	v_add_f16_e32 v1, v25, v18
	v_fmac_f16_e32 v49, 0x34f2, v5
	v_fmac_f16_e32 v52, 0xb4f2, v20
	;; [unrolled: 1-line block ×5, first 2 shown]
	v_add_f16_e32 v0, v1, v144
	v_add_f16_e32 v1, v51, v28
	;; [unrolled: 1-line block ×4, first 2 shown]
	v_sub_f16_e32 v25, v49, v52
	v_sub_f16_e32 v23, v23, v144
	;; [unrolled: 1-line block ×4, first 2 shown]
	v_add_f16_e32 v1, v1, v29
	v_fma_f16 v5, -0.5, v5, v51
	v_sub_f16_e32 v18, v30, v18
	v_add_f16_e32 v30, v28, v26
	v_add_f16_e32 v31, v31, v49
	;; [unrolled: 1-line block ×3, first 2 shown]
	v_fmamk_f16 v49, v23, 0x3b9c, v5
	v_fmac_f16_e32 v5, 0xbb9c, v23
	v_fmac_f16_e32 v51, -0.5, v30
	v_sub_f16_e32 v28, v29, v28
	v_sub_f16_e32 v19, v19, v26
	v_add_f16_e32 v1, v1, v26
	v_fmac_f16_e32 v49, 0x38b4, v18
	v_fmac_f16_e32 v5, 0xb8b4, v18
	v_fmamk_f16 v26, v18, 0xbb9c, v51
	v_fmac_f16_e32 v51, 0x3b9c, v18
	v_add_f16_e32 v18, v28, v19
	v_add_f16_e32 v19, v58, v17
	v_sub_f16_e32 v17, v22, v17
	v_sub_f16_e32 v22, v27, v16
	;; [unrolled: 1-line block ×3, first 2 shown]
	v_fmamk_f16 v28, v67, 0xbb9c, v53
	v_add_f16_e32 v16, v19, v16
	v_sub_f16_e32 v19, v4, v2
	v_add_f16_e32 v17, v17, v22
	v_fmamk_f16 v22, v64, 0x3b9c, v57
	v_fmac_f16_e32 v57, 0xbb9c, v64
	v_fmac_f16_e32 v53, 0x3b9c, v67
	v_add_f16_e32 v6, v6, v19
	v_add_f16_e32 v7, v62, v7
	v_fmac_f16_e32 v22, 0x38b4, v61
	v_fmac_f16_e32 v63, 0x38b4, v64
	;; [unrolled: 1-line block ×9, first 2 shown]
	v_add_f16_e32 v2, v7, v2
	v_fmac_f16_e32 v63, 0x34f2, v59
	v_fmac_f16_e32 v57, 0x34f2, v6
	;; [unrolled: 1-line block ×4, first 2 shown]
	v_mul_f16_e32 v7, 0xb8b4, v22
	v_mul_f16_e32 v17, 0x3a79, v22
	v_fmac_f16_e32 v26, 0x34f2, v18
	v_fmac_f16_e32 v51, 0x34f2, v18
	;; [unrolled: 1-line block ×3, first 2 shown]
	v_add_f16_e32 v2, v2, v4
	v_mul_f16_e32 v4, 0xbb9c, v63
	v_mul_f16_e32 v6, 0x34f2, v63
	;; [unrolled: 1-line block ×5, first 2 shown]
	v_fmac_f16_e32 v49, 0x34f2, v31
	v_add_f16_e32 v16, v16, v27
	v_fmac_f16_e32 v7, 0x3a79, v28
	v_fmac_f16_e32 v17, 0x38b4, v28
	;; [unrolled: 1-line block ×8, first 2 shown]
	v_add_f16_e32 v20, v0, v16
	v_sub_f16_e32 v0, v0, v16
	v_add_f16_e32 v16, v3, v7
	v_add_f16_e32 v23, v1, v2
	v_sub_f16_e32 v1, v1, v2
	v_add_f16_e32 v2, v49, v17
	v_sub_f16_e32 v3, v3, v7
	v_add_f16_e32 v7, v68, v4
	v_add_f16_e32 v27, v26, v6
	v_sub_f16_e32 v6, v26, v6
	v_add_f16_e32 v26, v51, v18
	v_add_f16_e32 v22, v50, v19
	;; [unrolled: 1-line block ×3, first 2 shown]
	v_sub_f16_e32 v4, v68, v4
	v_sub_f16_e32 v17, v49, v17
	;; [unrolled: 1-line block ×5, first 2 shown]
	v_pack_b32_f16 v20, v20, v23
	v_pack_b32_f16 v2, v16, v2
	;; [unrolled: 1-line block ×10, first 2 shown]
	ds_write2_b32 v146, v20, v2 offset1:30
	ds_write2_b32 v146, v7, v16 offset0:60 offset1:90
	ds_write2_b32 v146, v21, v0 offset0:120 offset1:150
	;; [unrolled: 1-line block ×4, first 2 shown]
	s_waitcnt lgkmcnt(0)
	s_barrier
	buffer_gl0_inv
	ds_read2_b32 v[0:1], v126 offset0:72 offset1:172
	ds_read2_b32 v[2:3], v125 offset0:88 offset1:188
	;; [unrolled: 1-line block ×9, first 2 shown]
	ds_read2_b32 v[73:74], v116 offset1:100
	s_waitcnt lgkmcnt(9)
	v_lshrrev_b32_e32 v16, 16, v1
	s_waitcnt lgkmcnt(8)
	v_lshrrev_b32_e32 v17, 16, v2
	v_mul_f16_sdwa v22, v45, v2 dst_sel:DWORD dst_unused:UNUSED_PAD src0_sel:WORD_1 src1_sel:DWORD
	s_waitcnt lgkmcnt(7)
	v_lshrrev_b32_e32 v19, 16, v5
	v_mul_f16_sdwa v24, v46, v5 dst_sel:DWORD dst_unused:UNUSED_PAD src0_sel:WORD_1 src1_sel:DWORD
	v_mul_f16_sdwa v18, v44, v1 dst_sel:DWORD dst_unused:UNUSED_PAD src0_sel:WORD_1 src1_sel:DWORD
	;; [unrolled: 1-line block ×3, first 2 shown]
	v_fma_f16 v50, v45, v17, -v22
	v_lshrrev_b32_e32 v17, 16, v3
	v_mul_f16_sdwa v20, v44, v16 dst_sel:DWORD dst_unused:UNUSED_PAD src0_sel:WORD_1 src1_sel:DWORD
	v_fma_f16 v49, v46, v19, -v24
	v_mul_f16_sdwa v51, v46, v19 dst_sel:DWORD dst_unused:UNUSED_PAD src0_sel:WORD_1 src1_sel:DWORD
	v_fmac_f16_e32 v53, v45, v2
	v_mul_f16_sdwa v24, v41, v17 dst_sel:DWORD dst_unused:UNUSED_PAD src0_sel:WORD_1 src1_sel:DWORD
	v_mul_f16_sdwa v2, v41, v3 dst_sel:DWORD dst_unused:UNUSED_PAD src0_sel:WORD_1 src1_sel:DWORD
	s_waitcnt lgkmcnt(6)
	v_lshrrev_b32_e32 v23, 16, v6
	v_fma_f16 v21, v44, v16, -v18
	v_mul_f16_sdwa v16, v47, v6 dst_sel:DWORD dst_unused:UNUSED_PAD src0_sel:WORD_1 src1_sel:DWORD
	v_fmac_f16_e32 v20, v44, v1
	v_lshrrev_b32_e32 v1, 16, v7
	v_fmac_f16_e32 v51, v46, v5
	v_fmac_f16_e32 v24, v41, v3
	v_mul_f16_sdwa v3, v43, v7 dst_sel:DWORD dst_unused:UNUSED_PAD src0_sel:WORD_1 src1_sel:DWORD
	v_fma_f16 v22, v41, v17, -v2
	s_waitcnt lgkmcnt(5)
	v_lshrrev_b32_e32 v2, 16, v28
	v_mul_f16_sdwa v5, v40, v28 dst_sel:DWORD dst_unused:UNUSED_PAD src0_sel:WORD_1 src1_sel:DWORD
	v_fma_f16 v52, v47, v23, -v16
	v_mul_f16_sdwa v54, v47, v23 dst_sel:DWORD dst_unused:UNUSED_PAD src0_sel:WORD_1 src1_sel:DWORD
	v_mul_f16_sdwa v25, v43, v1 dst_sel:DWORD dst_unused:UNUSED_PAD src0_sel:WORD_1 src1_sel:DWORD
	v_fma_f16 v23, v43, v1, -v3
	s_waitcnt lgkmcnt(4)
	v_lshrrev_b32_e32 v3, 16, v30
	v_fma_f16 v18, v40, v2, -v5
	v_mul_f16_sdwa v16, v40, v2 dst_sel:DWORD dst_unused:UNUSED_PAD src0_sel:WORD_1 src1_sel:DWORD
	v_lshrrev_b32_e32 v19, 16, v29
	ds_read2_b32 v[1:2], v122 offset0:120 offset1:220
	v_fmac_f16_e32 v54, v47, v6
	v_mul_f16_sdwa v6, v42, v30 dst_sel:DWORD dst_unused:UNUSED_PAD src0_sel:WORD_1 src1_sel:DWORD
	v_lshrrev_b32_e32 v41, 16, v4
	v_mul_f16_sdwa v27, v42, v3 dst_sel:DWORD dst_unused:UNUSED_PAD src0_sel:WORD_1 src1_sel:DWORD
	v_mul_f16_sdwa v5, v12, v19 dst_sel:DWORD dst_unused:UNUSED_PAD src0_sel:WORD_1 src1_sel:DWORD
	v_fmac_f16_e32 v16, v40, v28
	v_fma_f16 v26, v42, v3, -v6
	v_mul_f16_sdwa v17, v13, v41 dst_sel:DWORD dst_unused:UNUSED_PAD src0_sel:WORD_1 src1_sel:DWORD
	v_fmac_f16_e32 v27, v42, v30
	v_fmac_f16_e32 v5, v12, v29
	v_mul_f16_sdwa v3, v12, v29 dst_sel:DWORD dst_unused:UNUSED_PAD src0_sel:WORD_1 src1_sel:DWORD
	ds_read2_b32 v[29:30], v120 offset0:80 offset1:180
	v_lshrrev_b32_e32 v28, 16, v31
	v_fmac_f16_e32 v17, v13, v4
	v_mul_f16_sdwa v40, v13, v4 dst_sel:DWORD dst_unused:UNUSED_PAD src0_sel:WORD_1 src1_sel:DWORD
	v_fma_f16 v6, v12, v19, -v3
	ds_read2_b32 v[3:4], v119 offset0:96 offset1:196
	v_fmac_f16_e32 v25, v43, v7
	v_mul_f16_sdwa v7, v14, v28 dst_sel:DWORD dst_unused:UNUSED_PAD src0_sel:WORD_1 src1_sel:DWORD
	s_waitcnt lgkmcnt(2)
	v_lshrrev_b32_e32 v42, 16, v1
	v_lshrrev_b32_e32 v44, 16, v2
	v_fma_f16 v13, v13, v41, -v40
	v_mul_f16_sdwa v40, v37, v57 dst_sel:DWORD dst_unused:UNUSED_PAD src0_sel:WORD_1 src1_sel:DWORD
	v_fmac_f16_e32 v7, v14, v31
	v_mul_f16_sdwa v31, v14, v31 dst_sel:DWORD dst_unused:UNUSED_PAD src0_sel:WORD_1 src1_sel:DWORD
	v_mul_f16_sdwa v19, v15, v42 dst_sel:DWORD dst_unused:UNUSED_PAD src0_sel:WORD_1 src1_sel:DWORD
	v_mul_f16_sdwa v43, v36, v44 dst_sel:DWORD dst_unused:UNUSED_PAD src0_sel:WORD_1 src1_sel:DWORD
	v_add_f16_e32 v145, v18, v26
	v_add_f16_e32 v141, v16, v27
	v_fma_f16 v12, v14, v28, -v31
	v_mul_f16_sdwa v14, v15, v1 dst_sel:DWORD dst_unused:UNUSED_PAD src0_sel:WORD_1 src1_sel:DWORD
	v_mul_f16_sdwa v28, v36, v2 dst_sel:DWORD dst_unused:UNUSED_PAD src0_sel:WORD_1 src1_sel:DWORD
	v_fmac_f16_e32 v19, v15, v1
	v_fmac_f16_e32 v43, v36, v2
	s_waitcnt lgkmcnt(1)
	v_lshrrev_b32_e32 v1, 16, v30
	v_mul_f16_sdwa v2, v38, v30 dst_sel:DWORD dst_unused:UNUSED_PAD src0_sel:WORD_1 src1_sel:DWORD
	v_fma_f16 v14, v15, v42, -v14
	v_fma_f16 v42, v36, v44, -v28
	s_waitcnt lgkmcnt(0)
	v_lshrrev_b32_e32 v15, 16, v3
	v_mul_f16_sdwa v45, v38, v1 dst_sel:DWORD dst_unused:UNUSED_PAD src0_sel:WORD_1 src1_sel:DWORD
	v_fma_f16 v44, v38, v1, -v2
	v_lshrrev_b32_e32 v1, 16, v4
	v_lshrrev_b32_e32 v31, 16, v57
	v_mul_f16_sdwa v56, v39, v15 dst_sel:DWORD dst_unused:UNUSED_PAD src0_sel:WORD_1 src1_sel:DWORD
	v_mul_f16_sdwa v28, v39, v3 dst_sel:DWORD dst_unused:UNUSED_PAD src0_sel:WORD_1 src1_sel:DWORD
	v_lshrrev_b32_e32 v2, 16, v58
	v_mul_f16_sdwa v41, v35, v1 dst_sel:DWORD dst_unused:UNUSED_PAD src0_sel:WORD_1 src1_sel:DWORD
	v_mul_f16_sdwa v55, v37, v31 dst_sel:DWORD dst_unused:UNUSED_PAD src0_sel:WORD_1 src1_sel:DWORD
	v_fmac_f16_e32 v56, v39, v3
	v_mul_f16_sdwa v3, v33, v58 dst_sel:DWORD dst_unused:UNUSED_PAD src0_sel:WORD_1 src1_sel:DWORD
	v_fma_f16 v46, v37, v31, -v40
	v_fmac_f16_e32 v41, v35, v4
	v_mul_f16_sdwa v4, v35, v4 dst_sel:DWORD dst_unused:UNUSED_PAD src0_sel:WORD_1 src1_sel:DWORD
	v_mul_f16_sdwa v40, v33, v2 dst_sel:DWORD dst_unused:UNUSED_PAD src0_sel:WORD_1 src1_sel:DWORD
	v_fmac_f16_e32 v55, v37, v57
	v_fmac_f16_e32 v45, v38, v30
	v_fma_f16 v37, v33, v2, -v3
	v_fma_f16 v38, v35, v1, -v4
	ds_read2_b32 v[1:2], v114 offset0:40 offset1:140
	v_fma_f16 v47, v39, v15, -v28
	v_lshrrev_b32_e32 v15, 16, v59
	v_lshrrev_b32_e32 v30, 16, v61
	v_mul_f16_sdwa v3, v34, v61 dst_sel:DWORD dst_unused:UNUSED_PAD src0_sel:WORD_1 src1_sel:DWORD
	v_mul_f16_sdwa v28, v32, v59 dst_sel:DWORD dst_unused:UNUSED_PAD src0_sel:WORD_1 src1_sel:DWORD
	v_lshrrev_b32_e32 v31, 16, v60
	v_mul_f16_sdwa v36, v32, v15 dst_sel:DWORD dst_unused:UNUSED_PAD src0_sel:WORD_1 src1_sel:DWORD
	v_fmac_f16_e32 v40, v33, v58
	v_fma_f16 v35, v34, v30, -v3
	ds_read2_b32 v[3:4], v98 offset0:112 offset1:212
	v_fma_f16 v33, v32, v15, -v28
	v_mul_f16_sdwa v28, v8, v31 dst_sel:DWORD dst_unused:UNUSED_PAD src0_sel:WORD_1 src1_sel:DWORD
	v_fmac_f16_e32 v36, v32, v59
	v_mul_f16_sdwa v32, v8, v60 dst_sel:DWORD dst_unused:UNUSED_PAD src0_sel:WORD_1 src1_sel:DWORD
	v_mul_f16_sdwa v39, v34, v30 dst_sel:DWORD dst_unused:UNUSED_PAD src0_sel:WORD_1 src1_sel:DWORD
	v_lshrrev_b32_e32 v57, 16, v29
	v_lshrrev_b32_e32 v58, 16, v62
	v_fmac_f16_e32 v28, v8, v60
	v_fma_f16 v8, v8, v31, -v32
	s_waitcnt lgkmcnt(1)
	v_lshrrev_b32_e32 v31, 16, v1
	v_fmac_f16_e32 v39, v34, v61
	v_mul_f16_sdwa v30, v9, v57 dst_sel:DWORD dst_unused:UNUSED_PAD src0_sel:WORD_1 src1_sel:DWORD
	v_mul_f16_sdwa v15, v10, v58 dst_sel:DWORD dst_unused:UNUSED_PAD src0_sel:WORD_1 src1_sel:DWORD
	;; [unrolled: 1-line block ×5, first 2 shown]
	v_fmac_f16_e32 v30, v9, v29
	v_fmac_f16_e32 v15, v10, v62
	v_fma_f16 v29, v9, v57, -v34
	v_mul_f16_sdwa v34, v11, v1 dst_sel:DWORD dst_unused:UNUSED_PAD src0_sel:WORD_1 src1_sel:DWORD
	s_waitcnt lgkmcnt(0)
	v_lshrrev_b32_e32 v57, 16, v4
	v_fma_f16 v9, v10, v58, -v60
	v_mul_f16_sdwa v58, v132, v4 dst_sel:DWORD dst_unused:UNUSED_PAD src0_sel:WORD_1 src1_sel:DWORD
	v_fmac_f16_e32 v32, v11, v1
	v_fma_f16 v31, v11, v31, -v34
	v_mul_f16_sdwa v10, v132, v57 dst_sel:DWORD dst_unused:UNUSED_PAD src0_sel:WORD_1 src1_sel:DWORD
	v_add_f16_e32 v1, v19, v30
	v_fma_f16 v11, v132, v57, -v58
	v_add_f16_e32 v57, v17, v32
	v_add_f16_e32 v60, v28, v15
	v_fmac_f16_e32 v10, v132, v4
	v_fma_f16 v4, -0.5, v1, v0
	v_lshrrev_b32_e32 v1, 16, v0
	v_add_f16_e32 v58, v0, v17
	v_fmac_f16_e32 v0, -0.5, v57
	v_fma_f16 v57, -0.5, v60, v5
	v_add_f16_e32 v60, v8, v9
	v_add_f16_e32 v64, v12, v11
	;; [unrolled: 1-line block ×3, first 2 shown]
	v_sub_f16_e32 v66, v8, v12
	v_sub_f16_e32 v69, v9, v11
	v_fma_f16 v60, -0.5, v60, v6
	v_add_f16_e32 v65, v6, v12
	v_fmac_f16_e32 v6, -0.5, v64
	v_sub_f16_e32 v67, v28, v15
	v_add_f16_e32 v61, v5, v7
	v_fmac_f16_e32 v5, -0.5, v62
	v_sub_f16_e32 v62, v28, v7
	v_sub_f16_e32 v63, v15, v10
	v_add_f16_e32 v66, v66, v69
	v_sub_f16_e32 v70, v8, v9
	v_fmamk_f16 v64, v67, 0xbb9c, v6
	v_fmac_f16_e32 v6, 0x3b9c, v67
	v_sub_f16_e32 v69, v7, v10
	v_add_f16_e32 v68, v62, v63
	v_sub_f16_e32 v72, v14, v29
	v_fmamk_f16 v63, v70, 0x3b9c, v5
	v_fmac_f16_e32 v5, 0xbb9c, v70
	v_sub_f16_e32 v71, v12, v11
	v_fmac_f16_e32 v6, 0xb8b4, v69
	v_lshrrev_b32_e32 v59, 16, v2
	v_sub_f16_e32 v75, v19, v17
	v_sub_f16_e32 v76, v30, v32
	v_fmamk_f16 v62, v72, 0x3b9c, v0
	v_fmac_f16_e32 v0, 0xbb9c, v72
	v_sub_f16_e32 v77, v13, v31
	v_fmac_f16_e32 v5, 0x38b4, v71
	v_fmac_f16_e32 v6, 0x34f2, v66
	v_lshrrev_b32_e32 v78, 16, v3
	v_mul_f16_sdwa v79, v148, v3 dst_sel:DWORD dst_unused:UNUSED_PAD src0_sel:WORD_1 src1_sel:DWORD
	v_mul_f16_sdwa v34, v147, v59 dst_sel:DWORD dst_unused:UNUSED_PAD src0_sel:WORD_1 src1_sel:DWORD
	v_add_f16_e32 v75, v75, v76
	v_fmac_f16_e32 v0, 0x38b4, v77
	v_fmac_f16_e32 v5, 0x34f2, v68
	v_mul_f16_e32 v76, 0xbb9c, v6
	v_mul_f16_sdwa v80, v148, v78 dst_sel:DWORD dst_unused:UNUSED_PAD src0_sel:WORD_1 src1_sel:DWORD
	v_fma_f16 v78, v148, v78, -v79
	v_fmac_f16_e32 v34, v147, v2
	v_mul_f16_sdwa v2, v147, v2 dst_sel:DWORD dst_unused:UNUSED_PAD src0_sel:WORD_1 src1_sel:DWORD
	v_fmac_f16_e32 v0, 0x34f2, v75
	v_fmac_f16_e32 v76, 0xb4f2, v5
	;; [unrolled: 1-line block ×3, first 2 shown]
	v_add_f16_e32 v140, v33, v35
	v_add_f16_e32 v144, v26, v78
	;; [unrolled: 1-line block ×3, first 2 shown]
	v_fma_f16 v59, v147, v59, -v2
	v_add_f16_e32 v2, v0, v76
	v_sub_f16_e32 v0, v0, v76
	v_sub_f16_e32 v76, v53, v54
	;; [unrolled: 1-line block ×3, first 2 shown]
	v_add_f16_e32 v136, v36, v39
	v_add_f16_e32 v139, v27, v80
	v_sub_f16_e32 v142, v36, v27
	v_sub_f16_e32 v143, v39, v80
	v_fma_f16 v140, -0.5, v140, v18
	v_sub_f16_e32 v146, v33, v26
	v_sub_f16_e32 v147, v35, v78
	v_fmac_f16_e32 v18, -0.5, v144
	v_sub_f16_e32 v144, v36, v39
	v_fma_f16 v3, -0.5, v129, v73
	v_sub_f16_e32 v79, v50, v47
	v_add_f16_e32 v129, v53, v56
	v_add_f16_e32 v76, v76, v130
	;; [unrolled: 1-line block ×4, first 2 shown]
	v_fma_f16 v136, -0.5, v136, v16
	v_fmac_f16_e32 v16, -0.5, v139
	v_add_f16_e32 v139, v142, v143
	v_add_f16_e32 v142, v146, v147
	v_sub_f16_e32 v143, v33, v35
	v_fmamk_f16 v146, v144, 0xbb9c, v18
	v_fmac_f16_e32 v18, 0x3b9c, v144
	v_sub_f16_e32 v147, v27, v80
	v_fmamk_f16 v131, v79, 0xbb9c, v3
	v_sub_f16_e32 v132, v52, v46
	v_fmac_f16_e32 v3, 0x3b9c, v79
	v_fma_f16 v129, -0.5, v129, v73
	v_fma_f16 v130, -0.5, v130, v74
	v_lshrrev_b32_e32 v135, 16, v74
	v_add_f16_e32 v137, v74, v24
	v_fmac_f16_e32 v74, -0.5, v134
	v_sub_f16_e32 v148, v23, v37
	v_fmamk_f16 v149, v143, 0x3b9c, v16
	v_fmac_f16_e32 v16, 0xbb9c, v143
	v_sub_f16_e32 v150, v26, v78
	v_fmac_f16_e32 v18, 0xb8b4, v147
	v_fmac_f16_e32 v131, 0xb8b4, v132
	;; [unrolled: 1-line block ×3, first 2 shown]
	v_fmamk_f16 v133, v132, 0x3b9c, v129
	v_sub_f16_e32 v134, v25, v24
	v_sub_f16_e32 v138, v40, v41
	v_fmamk_f16 v151, v148, 0x3b9c, v74
	v_fmac_f16_e32 v74, 0xbb9c, v148
	v_sub_f16_e32 v152, v22, v38
	v_fmac_f16_e32 v16, 0x38b4, v150
	v_fmac_f16_e32 v18, 0x34f2, v142
	;; [unrolled: 1-line block ×3, first 2 shown]
	v_add_f16_e32 v132, v73, v53
	v_add_f16_e32 v134, v134, v138
	v_fmac_f16_e32 v74, 0x38b4, v152
	v_fmac_f16_e32 v16, 0x34f2, v139
	v_mul_f16_e32 v138, 0xbb9c, v18
	v_add_f16_e32 v132, v132, v54
	v_sub_f16_e32 v153, v54, v53
	v_sub_f16_e32 v154, v55, v56
	v_fmac_f16_e32 v74, 0x34f2, v134
	v_fmac_f16_e32 v138, 0xb4f2, v16
	v_lshrrev_b32_e32 v73, 16, v73
	v_add_f16_e32 v132, v132, v55
	v_add_f16_e32 v153, v153, v154
	v_fmac_f16_e32 v133, 0xb8b4, v79
	v_fmac_f16_e32 v129, 0x38b4, v79
	v_add_f16_e32 v79, v74, v138
	v_sub_f16_e32 v74, v74, v138
	v_fmac_f16_e32 v131, 0x34f2, v76
	v_fmac_f16_e32 v3, 0x34f2, v76
	v_add_f16_e32 v76, v132, v56
	v_add_f16_e32 v132, v73, v50
	;; [unrolled: 1-line block ×3, first 2 shown]
	v_fmac_f16_e32 v133, 0x34f2, v153
	v_fmac_f16_e32 v129, 0x34f2, v153
	v_sub_f16_e32 v53, v53, v56
	v_sub_f16_e32 v56, v50, v52
	;; [unrolled: 1-line block ×3, first 2 shown]
	v_add_f16_e32 v132, v132, v52
	v_fma_f16 v138, -0.5, v138, v73
	v_sub_f16_e32 v54, v54, v55
	v_add_f16_e32 v55, v50, v47
	v_add_f16_e32 v56, v56, v153
	;; [unrolled: 1-line block ×3, first 2 shown]
	v_fmamk_f16 v153, v53, 0x3b9c, v138
	v_fmac_f16_e32 v138, 0xbb9c, v53
	v_fmac_f16_e32 v73, -0.5, v55
	v_sub_f16_e32 v50, v52, v50
	v_add_f16_e32 v52, v132, v47
	v_fmac_f16_e32 v153, 0x38b4, v54
	v_fmac_f16_e32 v138, 0xb8b4, v54
	v_sub_f16_e32 v46, v46, v47
	v_fmamk_f16 v47, v54, 0xbb9c, v73
	v_fmac_f16_e32 v73, 0x3b9c, v54
	v_add_f16_e32 v54, v43, v45
	v_fmac_f16_e32 v153, 0x34f2, v56
	v_fmac_f16_e32 v138, 0x34f2, v56
	v_add_f16_e32 v46, v50, v46
	v_fmac_f16_e32 v47, 0x38b4, v53
	v_sub_f16_e32 v50, v51, v43
	v_sub_f16_e32 v55, v34, v45
	v_fma_f16 v54, -0.5, v54, v20
	v_sub_f16_e32 v56, v49, v59
	v_fmac_f16_e32 v73, 0xb8b4, v53
	v_add_f16_e32 v53, v51, v34
	v_add_f16_e32 v50, v50, v55
	v_add_f16_e32 v55, v20, v51
	v_fmamk_f16 v132, v56, 0xbb9c, v54
	v_sub_f16_e32 v154, v42, v44
	v_fmac_f16_e32 v20, -0.5, v53
	v_fmac_f16_e32 v54, 0x3b9c, v56
	v_sub_f16_e32 v53, v43, v51
	v_sub_f16_e32 v155, v45, v34
	v_fmac_f16_e32 v132, 0xb8b4, v154
	v_fmamk_f16 v156, v154, 0x3b9c, v20
	v_fmac_f16_e32 v20, 0xbb9c, v154
	v_fmac_f16_e32 v54, 0x38b4, v154
	v_add_f16_e32 v55, v55, v43
	v_add_f16_e32 v53, v53, v155
	v_fmac_f16_e32 v156, 0xb8b4, v56
	v_fmac_f16_e32 v20, 0x38b4, v56
	v_fmac_f16_e32 v47, 0x34f2, v46
	v_fmac_f16_e32 v73, 0x34f2, v46
	v_add_f16_e32 v46, v55, v45
	v_fmac_f16_e32 v132, 0x34f2, v50
	v_fmac_f16_e32 v54, 0x34f2, v50
	v_add_f16_e32 v50, v42, v44
	v_add_f16_e32 v55, v49, v59
	v_fmac_f16_e32 v156, 0x34f2, v53
	v_fmac_f16_e32 v20, 0x34f2, v53
	v_add_f16_e32 v46, v46, v34
	v_sub_f16_e32 v34, v51, v34
	v_sub_f16_e32 v51, v49, v42
	;; [unrolled: 1-line block ×3, first 2 shown]
	v_add_f16_e32 v56, v21, v49
	v_fma_f16 v50, -0.5, v50, v21
	v_sub_f16_e32 v43, v43, v45
	v_fmac_f16_e32 v21, -0.5, v55
	v_add_f16_e32 v45, v51, v53
	v_add_f16_e32 v51, v56, v42
	v_fmamk_f16 v53, v34, 0x3b9c, v50
	v_sub_f16_e32 v42, v42, v49
	v_sub_f16_e32 v49, v44, v59
	v_fmamk_f16 v55, v43, 0xbb9c, v21
	v_fmac_f16_e32 v21, 0x3b9c, v43
	v_fmac_f16_e32 v53, 0x38b4, v43
	;; [unrolled: 1-line block ×3, first 2 shown]
	v_add_f16_e32 v42, v42, v49
	v_fmac_f16_e32 v55, 0x38b4, v34
	v_fmac_f16_e32 v21, 0xb8b4, v34
	;; [unrolled: 1-line block ×3, first 2 shown]
	v_add_f16_e32 v44, v51, v44
	v_fmac_f16_e32 v50, 0xb8b4, v43
	v_fmac_f16_e32 v55, 0x34f2, v42
	;; [unrolled: 1-line block ×3, first 2 shown]
	v_mul_f16_e32 v34, 0xb8b4, v53
	v_add_f16_e32 v44, v44, v59
	v_mul_f16_e32 v43, 0x3a79, v53
	v_mul_f16_e32 v42, 0x34f2, v55
	;; [unrolled: 1-line block ×4, first 2 shown]
	v_fmac_f16_e32 v34, 0x3a79, v132
	v_fmac_f16_e32 v50, 0x34f2, v45
	;; [unrolled: 1-line block ×5, first 2 shown]
	v_mul_f16_e32 v45, 0xbb9c, v55
	v_add_f16_e32 v20, v76, v46
	v_sub_f16_e32 v46, v76, v46
	v_add_f16_e32 v53, v131, v34
	v_sub_f16_e32 v34, v131, v34
	;; [unrolled: 2-line block ×4, first 2 shown]
	v_sub_f16_e32 v47, v24, v25
	v_sub_f16_e32 v76, v41, v40
	v_add_f16_e32 v129, v73, v21
	v_fmamk_f16 v131, v152, 0xbb9c, v130
	v_fmac_f16_e32 v130, 0x3b9c, v152
	v_sub_f16_e32 v21, v73, v21
	v_add_f16_e32 v73, v137, v25
	v_add_f16_e32 v47, v47, v76
	v_fmac_f16_e32 v131, 0xb8b4, v148
	v_fmac_f16_e32 v130, 0x38b4, v148
	;; [unrolled: 1-line block ×3, first 2 shown]
	v_add_f16_e32 v73, v73, v40
	v_fmac_f16_e32 v45, 0x34f2, v156
	v_mul_f16_e32 v51, 0xb8b4, v50
	v_mul_f16_e32 v50, 0xba79, v50
	v_fmac_f16_e32 v131, 0x34f2, v47
	v_fmac_f16_e32 v130, 0x34f2, v47
	v_add_f16_e32 v47, v73, v41
	v_add_f16_e32 v73, v135, v22
	;; [unrolled: 1-line block ×3, first 2 shown]
	v_fmac_f16_e32 v51, 0xba79, v54
	v_fmac_f16_e32 v50, 0x38b4, v54
	v_add_f16_e32 v54, v133, v45
	v_sub_f16_e32 v45, v133, v45
	v_sub_f16_e32 v24, v24, v41
	;; [unrolled: 1-line block ×4, first 2 shown]
	v_add_f16_e32 v73, v73, v23
	v_fma_f16 v132, -0.5, v132, v135
	v_sub_f16_e32 v25, v25, v40
	v_add_f16_e32 v40, v22, v38
	v_add_f16_e32 v41, v41, v133
	;; [unrolled: 1-line block ×3, first 2 shown]
	v_fmamk_f16 v133, v24, 0x3b9c, v132
	v_fmac_f16_e32 v132, 0xbb9c, v24
	v_fmac_f16_e32 v135, -0.5, v40
	v_sub_f16_e32 v22, v23, v22
	v_sub_f16_e32 v37, v37, v38
	v_add_f16_e32 v23, v73, v38
	v_fmac_f16_e32 v133, 0x38b4, v25
	v_fmac_f16_e32 v132, 0xb8b4, v25
	v_fmamk_f16 v38, v25, 0xbb9c, v135
	v_fmac_f16_e32 v135, 0x3b9c, v25
	v_add_f16_e32 v22, v22, v37
	v_add_f16_e32 v25, v141, v36
	v_sub_f16_e32 v27, v27, v36
	v_sub_f16_e32 v36, v80, v39
	v_fmamk_f16 v37, v150, 0xbb9c, v136
	v_fmac_f16_e32 v136, 0x3b9c, v150
	v_fmac_f16_e32 v146, 0x38b4, v147
	;; [unrolled: 1-line block ×4, first 2 shown]
	v_add_f16_e32 v24, v25, v39
	v_add_f16_e32 v25, v27, v36
	v_fmac_f16_e32 v37, 0xb8b4, v143
	v_fmac_f16_e32 v136, 0x38b4, v143
	;; [unrolled: 1-line block ×4, first 2 shown]
	v_sub_f16_e32 v26, v26, v33
	v_fmac_f16_e32 v37, 0x34f2, v25
	v_fmac_f16_e32 v136, 0x34f2, v25
	v_add_f16_e32 v25, v145, v33
	v_fmac_f16_e32 v149, 0x34f2, v139
	v_mul_f16_e32 v33, 0x34f2, v146
	v_fmac_f16_e32 v38, 0x34f2, v22
	v_fmac_f16_e32 v135, 0x34f2, v22
	v_add_f16_e32 v22, v24, v80
	v_mul_f16_e32 v18, 0xb4f2, v18
	v_fmac_f16_e32 v33, 0x3b9c, v149
	v_sub_f16_e32 v73, v32, v30
	v_fmamk_f16 v80, v77, 0xbb9c, v4
	v_fmac_f16_e32 v4, 0x3b9c, v77
	v_fmac_f16_e32 v18, 0x3b9c, v16
	v_add_f16_e32 v16, v47, v22
	v_sub_f16_e32 v22, v47, v22
	v_add_f16_e32 v47, v38, v33
	v_sub_f16_e32 v33, v38, v33
	v_sub_f16_e32 v38, v17, v19
	v_add_f16_e32 v58, v58, v19
	v_fmac_f16_e32 v80, 0xb8b4, v72
	v_fmac_f16_e32 v4, 0x38b4, v72
	;; [unrolled: 1-line block ×3, first 2 shown]
	v_add_f16_e32 v38, v38, v73
	v_add_f16_e32 v58, v58, v30
	;; [unrolled: 1-line block ×3, first 2 shown]
	v_sub_f16_e32 v17, v17, v32
	v_fmac_f16_e32 v62, 0x34f2, v75
	v_fmac_f16_e32 v80, 0x34f2, v38
	;; [unrolled: 1-line block ×3, first 2 shown]
	v_add_f16_e32 v38, v58, v32
	v_add_f16_e32 v58, v1, v13
	v_sub_f16_e32 v32, v13, v14
	v_sub_f16_e32 v75, v31, v29
	v_fma_f16 v73, -0.5, v73, v1
	v_sub_f16_e32 v19, v19, v30
	v_add_f16_e32 v30, v13, v31
	v_add_f16_e32 v58, v58, v14
	v_add_f16_e32 v32, v32, v75
	v_fmamk_f16 v75, v17, 0x3b9c, v73
	v_fmac_f16_e32 v73, 0xbb9c, v17
	v_fmac_f16_e32 v1, -0.5, v30
	v_add_f16_e32 v58, v58, v29
	v_sub_f16_e32 v13, v14, v13
	v_sub_f16_e32 v29, v29, v31
	v_fmac_f16_e32 v75, 0x38b4, v19
	v_fmac_f16_e32 v73, 0xb8b4, v19
	v_fmamk_f16 v30, v19, 0xbb9c, v1
	v_fmac_f16_e32 v1, 0x3b9c, v19
	v_add_f16_e32 v19, v61, v28
	v_add_f16_e32 v13, v13, v29
	v_sub_f16_e32 v7, v7, v28
	v_sub_f16_e32 v28, v10, v15
	v_fmamk_f16 v29, v71, 0xbb9c, v57
	v_fmac_f16_e32 v57, 0x3b9c, v71
	v_fmac_f16_e32 v30, 0x38b4, v17
	;; [unrolled: 1-line block ×3, first 2 shown]
	v_add_f16_e32 v15, v19, v15
	v_sub_f16_e32 v12, v12, v8
	v_sub_f16_e32 v17, v11, v9
	v_fmamk_f16 v19, v69, 0x3b9c, v60
	v_fmac_f16_e32 v60, 0xbb9c, v69
	v_sub_f16_e32 v27, v78, v35
	v_fmamk_f16 v36, v147, 0x3b9c, v140
	v_add_f16_e32 v7, v7, v28
	v_fmac_f16_e32 v29, 0xb8b4, v70
	v_fmac_f16_e32 v57, 0x38b4, v70
	;; [unrolled: 1-line block ×3, first 2 shown]
	v_add_f16_e32 v12, v12, v17
	v_fmac_f16_e32 v60, 0xb8b4, v67
	v_add_f16_e32 v24, v26, v27
	v_fmac_f16_e32 v36, 0x38b4, v144
	v_fmac_f16_e32 v19, 0x38b4, v67
	v_fmac_f16_e32 v29, 0x34f2, v7
	v_fmac_f16_e32 v57, 0x34f2, v7
	v_add_f16_e32 v7, v65, v8
	v_fmac_f16_e32 v64, 0x38b4, v69
	v_fmac_f16_e32 v140, 0xb8b4, v144
	;; [unrolled: 1-line block ×6, first 2 shown]
	v_add_f16_e32 v7, v7, v9
	v_fmac_f16_e32 v64, 0x34f2, v66
	v_fmac_f16_e32 v140, 0x34f2, v24
	v_add_f16_e32 v25, v25, v35
	v_fmac_f16_e32 v30, 0x34f2, v13
	v_fmac_f16_e32 v1, 0x34f2, v13
	v_mul_f16_e32 v13, 0xb8b4, v60
	v_add_f16_e32 v56, v3, v51
	v_sub_f16_e32 v3, v3, v51
	v_add_f16_e32 v51, v52, v44
	v_sub_f16_e32 v44, v52, v44
	v_add_f16_e32 v52, v153, v43
	v_mul_f16_e32 v26, 0xb8b4, v36
	v_mul_f16_e32 v27, 0x3a79, v36
	;; [unrolled: 1-line block ×4, first 2 shown]
	v_fmac_f16_e32 v151, 0xb8b4, v152
	v_mul_f16_e32 v24, 0xbb9c, v146
	v_fmac_f16_e32 v63, 0x34f2, v68
	v_add_f16_e32 v7, v7, v11
	v_mul_f16_e32 v11, 0xbb9c, v64
	v_mul_f16_e32 v12, 0x34f2, v64
	v_add_f16_e32 v10, v15, v10
	v_mul_f16_e32 v6, 0xb4f2, v6
	v_add_f16_e32 v76, v138, v50
	v_mul_f16_e32 v35, 0xb8b4, v140
	v_mul_f16_e32 v36, 0xba79, v140
	;; [unrolled: 1-line block ×3, first 2 shown]
	v_add_f16_e32 v25, v25, v78
	v_add_f16_e32 v14, v58, v31
	v_fmac_f16_e32 v13, 0xba79, v57
	v_sub_f16_e32 v43, v153, v43
	v_fmac_f16_e32 v133, 0x34f2, v41
	v_fmac_f16_e32 v26, 0x3a79, v37
	v_fmac_f16_e32 v27, 0x38b4, v37
	v_fmac_f16_e32 v75, 0x34f2, v32
	v_fmac_f16_e32 v8, 0x3a79, v29
	v_fmac_f16_e32 v9, 0x38b4, v29
	v_pack_b32_f16 v31, v53, v52
	v_fmac_f16_e32 v151, 0x34f2, v134
	v_fmac_f16_e32 v24, 0x34f2, v149
	;; [unrolled: 1-line block ×5, first 2 shown]
	v_pack_b32_f16 v32, v54, v59
	v_fmac_f16_e32 v6, 0x3b9c, v5
	v_add_f16_e32 v5, v38, v10
	v_sub_f16_e32 v10, v38, v10
	v_pack_b32_f16 v38, v55, v129
	v_sub_f16_e32 v50, v138, v50
	v_fmac_f16_e32 v132, 0x34f2, v41
	v_fmac_f16_e32 v35, 0xba79, v136
	;; [unrolled: 1-line block ×4, first 2 shown]
	v_pack_b32_f16 v20, v20, v51
	v_pack_b32_f16 v51, v56, v76
	v_add_f16_e32 v41, v23, v25
	v_add_f16_e32 v28, v4, v13
	v_sub_f16_e32 v4, v4, v13
	v_add_f16_e32 v13, v14, v7
	v_pack_b32_f16 v44, v46, v44
	v_add_f16_e32 v37, v131, v26
	v_sub_f16_e32 v23, v23, v25
	v_add_f16_e32 v25, v133, v27
	v_add_f16_e32 v17, v80, v8
	v_sub_f16_e32 v7, v14, v7
	v_add_f16_e32 v14, v75, v9
	ds_write_b32 v116, v31 offset:1200
	ds_write_b32 v116, v32 offset:2400
	;; [unrolled: 1-line block ×5, first 2 shown]
	v_pack_b32_f16 v31, v34, v43
	v_add_f16_e32 v39, v151, v24
	v_add_f16_e32 v19, v62, v11
	;; [unrolled: 1-line block ×3, first 2 shown]
	v_pack_b32_f16 v32, v45, v42
	v_add_f16_e32 v78, v135, v18
	v_sub_f16_e32 v12, v30, v12
	v_add_f16_e32 v30, v1, v6
	v_pack_b32_f16 v21, v49, v21
	v_add_f16_e32 v40, v130, v35
	v_add_f16_e32 v72, v132, v36
	v_sub_f16_e32 v1, v1, v6
	v_add_f16_e32 v6, v73, v15
	v_pack_b32_f16 v3, v3, v50
	v_pack_b32_f16 v16, v16, v41
	;; [unrolled: 1-line block ×3, first 2 shown]
	v_sub_f16_e32 v26, v131, v26
	v_sub_f16_e32 v27, v133, v27
	;; [unrolled: 1-line block ×4, first 2 shown]
	ds_write_b32 v116, v31 offset:7200
	ds_write_b32 v116, v32 offset:8400
	;; [unrolled: 1-line block ×4, first 2 shown]
	ds_write2_b32 v116, v20, v16 offset1:100
	v_pack_b32_f16 v3, v37, v25
	v_pack_b32_f16 v13, v17, v14
	v_sub_f16_e32 v24, v151, v24
	v_sub_f16_e32 v11, v62, v11
	v_pack_b32_f16 v16, v39, v47
	v_pack_b32_f16 v14, v19, v29
	v_sub_f16_e32 v18, v135, v18
	v_pack_b32_f16 v20, v79, v78
	v_pack_b32_f16 v2, v2, v30
	v_sub_f16_e32 v35, v130, v35
	v_sub_f16_e32 v36, v132, v36
	;; [unrolled: 1-line block ×3, first 2 shown]
	v_pack_b32_f16 v21, v40, v72
	v_pack_b32_f16 v6, v28, v6
	;; [unrolled: 1-line block ×3, first 2 shown]
	ds_write_b32 v116, v5 offset:800
	ds_write2_b32 v110, v3, v13 offset0:144 offset1:244
	ds_write2_b32 v128, v16, v14 offset0:60 offset1:160
	;; [unrolled: 1-line block ×4, first 2 shown]
	v_pack_b32_f16 v2, v10, v7
	v_pack_b32_f16 v23, v26, v27
	v_pack_b32_f16 v3, v8, v9
	v_pack_b32_f16 v24, v24, v33
	v_pack_b32_f16 v5, v11, v12
	v_pack_b32_f16 v18, v74, v18
	v_pack_b32_f16 v0, v0, v1
	v_pack_b32_f16 v25, v35, v36
	v_pack_b32_f16 v1, v4, v15
	ds_write2_b32 v104, v22, v2 offset0:64 offset1:164
	ds_write2_b32 v121, v23, v3 offset0:108 offset1:208
	;; [unrolled: 1-line block ×5, first 2 shown]
	s_waitcnt lgkmcnt(0)
	s_barrier
	buffer_gl0_inv
	ds_read2_b32 v[12:13], v116 offset1:100
	ds_read2_b32 v[4:5], v126 offset0:72 offset1:172
	s_waitcnt lgkmcnt(1)
	v_lshrrev_b32_e32 v2, 16, v12
	v_mul_f16_sdwa v3, v118, v12 dst_sel:DWORD dst_unused:UNUSED_PAD src0_sel:WORD_1 src1_sel:DWORD
	s_waitcnt lgkmcnt(0)
	v_lshrrev_b32_e32 v10, 16, v5
	v_mul_f16_sdwa v0, v118, v2 dst_sel:DWORD dst_unused:UNUSED_PAD src0_sel:WORD_1 src1_sel:DWORD
	v_fma_f16 v2, v118, v2, -v3
	v_fmac_f16_e32 v0, v118, v12
	v_cvt_f32_f16_e32 v2, v2
	v_cvt_f32_f16_e32 v0, v0
	v_cvt_f64_f32_e32 v[2:3], v2
	v_cvt_f64_f32_e32 v[0:1], v0
	v_mul_f64 v[2:3], v[2:3], s[2:3]
	v_mul_f64 v[0:1], v[0:1], s[2:3]
	v_and_or_b32 v2, 0x1ff, v3, v2
	v_lshrrev_b32_e32 v8, 8, v3
	v_bfe_u32 v12, v3, 20, 11
	v_lshrrev_b32_e32 v3, 16, v3
	v_and_or_b32 v0, 0x1ff, v1, v0
	v_lshrrev_b32_e32 v6, 8, v1
	v_bfe_u32 v7, v1, 20, 11
	v_sub_nc_u32_e32 v14, 0x3f1, v12
	v_add_nc_u32_e32 v17, 0xfffffc10, v12
	v_cmp_ne_u32_e32 vcc_lo, 0, v0
	v_lshrrev_b32_e32 v18, 16, v1
	v_add_nc_u32_e32 v16, 0xfffffc10, v7
	v_med3_i32 v14, v14, 0, 13
	v_cmp_gt_i32_e64 s1, 1, v17
	v_cndmask_b32_e64 v0, 0, 1, vcc_lo
	v_cmp_ne_u32_e32 vcc_lo, 0, v2
	v_and_or_b32 v9, 0xffe, v6, v0
	v_sub_nc_u32_e32 v0, 0x3f1, v7
	v_cndmask_b32_e64 v2, 0, 1, vcc_lo
	v_or_b32_e32 v6, 0x1000, v9
	v_med3_i32 v0, v0, 0, 13
	v_and_or_b32 v2, 0xffe, v8, v2
	v_mul_f16_sdwa v8, v117, v10 dst_sel:DWORD dst_unused:UNUSED_PAD src0_sel:WORD_1 src1_sel:DWORD
	v_lshrrev_b32_e32 v11, v0, v6
	v_or_b32_e32 v15, 0x1000, v2
	v_fmac_f16_e32 v8, v117, v5
	v_mul_f16_sdwa v5, v117, v5 dst_sel:DWORD dst_unused:UNUSED_PAD src0_sel:WORD_1 src1_sel:DWORD
	v_lshlrev_b32_e32 v0, v0, v11
	v_fma_f16 v10, v117, v10, -v5
	v_cmp_ne_u32_e32 vcc_lo, v0, v6
	v_cvt_f32_f16_e32 v6, v8
	v_lshl_or_b32 v8, v16, 12, v9
	v_cndmask_b32_e64 v0, 0, 1, vcc_lo
	v_cvt_f64_f32_e32 v[6:7], v6
	v_cmp_gt_i32_e32 vcc_lo, 1, v16
	v_or_b32_e32 v0, v11, v0
	v_lshrrev_b32_e32 v11, v14, v15
	v_cndmask_b32_e32 v0, v8, v0, vcc_lo
	v_lshlrev_b32_e32 v8, v14, v11
	v_and_b32_e32 v14, 7, v0
	v_cmp_ne_u32_e32 vcc_lo, v8, v15
	v_lshl_or_b32 v15, v17, 12, v2
	v_lshrrev_b32_e32 v0, 2, v0
	v_cmp_eq_u32_e64 s0, 3, v14
	v_cndmask_b32_e64 v8, 0, 1, vcc_lo
	v_cmp_lt_i32_e32 vcc_lo, 5, v14
	v_mul_f64 v[5:6], v[6:7], s[2:3]
	v_cvt_f32_f16_e32 v7, v10
	v_or_b32_e32 v8, v11, v8
	s_or_b32 vcc_lo, s0, vcc_lo
	v_mad_u64_u32 v[11:12], null, s10, v48, 0
	v_add_co_ci_u32_e32 v10, vcc_lo, 0, v0, vcc_lo
	v_cndmask_b32_e64 v14, v15, v8, s1
	v_cvt_f64_f32_e32 v[7:8], v7
	v_cmp_ne_u32_e32 vcc_lo, 0, v9
	v_cmp_gt_i32_e64 s1, 31, v16
	v_mov_b32_e32 v0, v12
	v_and_b32_e32 v15, 7, v14
	v_lshrrev_b32_e32 v12, 2, v14
	v_cndmask_b32_e64 v9, 0, 1, vcc_lo
	v_cndmask_b32_e64 v10, 0x7c00, v10, s1
	v_cmp_lt_i32_e32 vcc_lo, 5, v15
	v_cmp_eq_u32_e64 s0, 3, v15
	v_lshl_or_b32 v9, v9, 9, 0x7c00
	v_and_or_b32 v5, 0x1ff, v6, v5
	v_lshrrev_b32_e32 v20, 8, v6
	v_bfe_u32 v21, v6, 20, 11
	s_or_b32 vcc_lo, s0, vcc_lo
	s_load_dwordx2 s[0:1], s[4:5], 0x38
	v_add_co_ci_u32_e32 v12, vcc_lo, 0, v12, vcc_lo
	v_cmp_eq_u32_e32 vcc_lo, 0x40f, v16
	v_lshrrev_b32_e32 v25, 16, v6
	s_mul_i32 s4, s9, 0x4b0
	s_mul_i32 s5, s8, 0x4b0
	v_cndmask_b32_e32 v16, v10, v9, vcc_lo
	v_cmp_ne_u32_e32 vcc_lo, 0, v2
	v_mul_f64 v[1:2], v[7:8], s[2:3]
	ds_read2_b32 v[9:10], v125 offset0:88 offset1:188
	v_mad_u64_u32 v[7:8], null, s8, v112, 0
	v_cndmask_b32_e64 v14, 0, 1, vcc_lo
	v_cmp_gt_i32_e32 vcc_lo, 31, v17
	v_and_or_b32 v18, 0x8000, v18, v16
	v_lshl_or_b32 v19, v14, 9, 0x7c00
	v_cndmask_b32_e32 v12, 0x7c00, v12, vcc_lo
	v_cmp_ne_u32_e32 vcc_lo, 0, v5
	v_cndmask_b32_e64 v5, 0, 1, vcc_lo
	v_cmp_eq_u32_e32 vcc_lo, 0x40f, v17
	v_and_or_b32 v5, 0xffe, v20, v5
	v_mad_u64_u32 v[14:15], null, s11, v48, v[0:1]
	v_sub_nc_u32_e32 v15, 0x3f1, v21
	v_mov_b32_e32 v0, v8
	s_waitcnt lgkmcnt(0)
	v_lshrrev_b32_e32 v20, 16, v9
	v_cndmask_b32_e32 v17, v12, v19, vcc_lo
	v_or_b32_e32 v8, 0x1000, v5
	v_med3_i32 v19, v15, 0, 13
	v_mad_u64_u32 v[15:16], null, s9, v112, v[0:1]
	v_and_or_b32 v0, 0x1ff, v2, v1
	v_mul_f16_sdwa v1, v115, v20 dst_sel:DWORD dst_unused:UNUSED_PAD src0_sel:WORD_1 src1_sel:DWORD
	v_lshrrev_b32_e32 v16, v19, v8
	v_and_or_b32 v3, 0x8000, v3, v17
	v_lshrrev_b32_e32 v17, 8, v2
	v_cmp_ne_u32_e32 vcc_lo, 0, v0
	v_fmac_f16_e32 v1, v115, v9
	v_mov_b32_e32 v12, v14
	v_lshlrev_b32_e32 v14, v19, v16
	v_bfe_u32 v19, v2, 20, 11
	v_cndmask_b32_e64 v0, 0, 1, vcc_lo
	v_cvt_f32_f16_e32 v1, v1
	v_add_nc_u32_e32 v21, 0xfffffc10, v21
	v_cmp_ne_u32_e32 vcc_lo, v14, v8
	v_sub_nc_u32_e32 v14, 0x3f1, v19
	v_and_or_b32 v22, 0xffe, v17, v0
	v_cvt_f64_f32_e32 v[0:1], v1
	v_and_b32_e32 v17, 0xffff, v18
	v_cndmask_b32_e64 v8, 0, 1, vcc_lo
	v_med3_i32 v14, v14, 0, 13
	v_or_b32_e32 v18, 0x1000, v22
	v_lshl_or_b32 v23, v21, 12, v5
	v_cmp_gt_i32_e32 vcc_lo, 1, v21
	v_or_b32_e32 v16, v16, v8
	v_mul_f16_sdwa v9, v115, v9 dst_sel:DWORD dst_unused:UNUSED_PAD src0_sel:WORD_1 src1_sel:DWORD
	v_lshrrev_b32_e32 v24, v14, v18
	v_lshlrev_b64 v[11:12], 2, v[11:12]
	v_mov_b32_e32 v8, v15
	v_cndmask_b32_e32 v16, v23, v16, vcc_lo
	v_lshl_or_b32 v23, v3, 16, v17
	v_lshlrev_b32_e32 v3, v14, v24
	v_fma_f16 v9, v115, v20, -v9
	v_add_co_u32 v17, vcc_lo, s0, v11
	v_and_b32_e32 v14, 7, v16
	v_cmp_ne_u32_e64 s0, v3, v18
	v_add_co_ci_u32_e32 v20, vcc_lo, s1, v12, vcc_lo
	v_mul_f64 v[11:12], v[0:1], s[2:3]
	v_cvt_f32_f16_e32 v0, v9
	v_cmp_lt_i32_e32 vcc_lo, 5, v14
	v_cndmask_b32_e64 v1, 0, 1, s0
	v_cmp_eq_u32_e64 s0, 3, v14
	v_add_nc_u32_e32 v3, 0xfffffc10, v19
	v_cvt_f64_f32_e32 v[14:15], v0
	v_lshrrev_b32_e32 v0, 2, v16
	v_lshlrev_b64 v[7:8], 2, v[7:8]
	s_or_b32 vcc_lo, s0, vcc_lo
	v_or_b32_e32 v9, v24, v1
	v_lshl_or_b32 v16, v3, 12, v22
	v_add_co_ci_u32_e32 v18, vcc_lo, 0, v0, vcc_lo
	v_cmp_ne_u32_e32 vcc_lo, 0, v5
	ds_read2_b32 v[0:1], v124 offset0:32 offset1:132
	v_cndmask_b32_e64 v5, 0, 1, vcc_lo
	v_cmp_gt_i32_e32 vcc_lo, 1, v3
	v_lshl_or_b32 v5, v5, 9, 0x7c00
	v_cndmask_b32_e32 v9, v16, v9, vcc_lo
	v_add_co_u32 v16, vcc_lo, v17, v7
	v_and_or_b32 v7, 0x1ff, v12, v11
	v_add_co_ci_u32_e32 v17, vcc_lo, v20, v8, vcc_lo
	v_and_b32_e32 v19, 7, v9
	v_cmp_gt_i32_e32 vcc_lo, 31, v21
	v_cmp_ne_u32_e64 s0, 0, v7
	v_mul_f64 v[7:8], v[14:15], s[2:3]
	v_lshrrev_b32_e32 v9, 2, v9
	v_lshrrev_b32_e32 v20, 8, v12
	v_cndmask_b32_e32 v11, 0x7c00, v18, vcc_lo
	v_cmp_lt_i32_e32 vcc_lo, 5, v19
	v_cndmask_b32_e64 v18, 0, 1, s0
	v_cmp_eq_u32_e64 s0, 3, v19
	v_bfe_u32 v14, v12, 20, 11
	s_waitcnt lgkmcnt(0)
	v_lshrrev_b32_e32 v15, 16, v1
	global_store_dword v[16:17], v23, off
	v_and_or_b32 v18, 0xffe, v20, v18
	s_or_b32 vcc_lo, s0, vcc_lo
	v_sub_nc_u32_e32 v19, 0x3f1, v14
	v_add_co_ci_u32_e32 v9, vcc_lo, 0, v9, vcc_lo
	v_cmp_eq_u32_e32 vcc_lo, 0x40f, v21
	v_mul_f16_sdwa v20, v113, v15 dst_sel:DWORD dst_unused:UNUSED_PAD src0_sel:WORD_1 src1_sel:DWORD
	v_or_b32_e32 v24, 0x1000, v18
	v_med3_i32 v19, v19, 0, 13
	v_lshrrev_b32_e32 v12, 16, v12
	v_cndmask_b32_e32 v11, v11, v5, vcc_lo
	v_cmp_ne_u32_e32 vcc_lo, 0, v22
	v_fmac_f16_e32 v20, v113, v1
	v_lshrrev_b32_e32 v21, v19, v24
	v_and_or_b32 v7, 0x1ff, v8, v7
	v_mul_f16_sdwa v1, v113, v1 dst_sel:DWORD dst_unused:UNUSED_PAD src0_sel:WORD_1 src1_sel:DWORD
	v_cndmask_b32_e64 v5, 0, 1, vcc_lo
	v_cmp_gt_i32_e32 vcc_lo, 31, v3
	v_cvt_f32_f16_e32 v20, v20
	v_lshlrev_b32_e32 v19, v19, v21
	v_fma_f16 v1, v113, v15, -v1
	v_lshl_or_b32 v22, v5, 9, 0x7c00
	v_cndmask_b32_e32 v9, 0x7c00, v9, vcc_lo
	v_cmp_eq_u32_e32 vcc_lo, 0x40f, v3
	v_cvt_f64_f32_e32 v[5:6], v20
	v_bfe_u32 v20, v8, 20, 11
	v_and_or_b32 v11, 0x8000, v25, v11
	v_cvt_f32_f16_e32 v1, v1
	v_cndmask_b32_e32 v9, v9, v22, vcc_lo
	v_cmp_ne_u32_e32 vcc_lo, 0, v7
	v_lshrrev_b32_e32 v7, 8, v8
	v_add_nc_u32_e32 v22, 0xfffffc10, v14
	v_lshrrev_b32_e32 v8, 16, v8
	v_cndmask_b32_e64 v3, 0, 1, vcc_lo
	v_cmp_ne_u32_e32 vcc_lo, v19, v24
	v_lshl_or_b32 v14, v22, 12, v18
	v_and_or_b32 v24, 0xffe, v7, v3
	v_cndmask_b32_e64 v19, 0, 1, vcc_lo
	v_cmp_gt_i32_e32 vcc_lo, 1, v22
	v_lshrrev_b32_e32 v7, 16, v2
	v_sub_nc_u32_e32 v2, 0x3f1, v20
	v_or_b32_e32 v3, v21, v19
	v_or_b32_e32 v19, 0x1000, v24
	v_med3_i32 v21, v2, 0, 13
	v_cndmask_b32_e32 v25, v14, v3, vcc_lo
	v_mul_f64 v[2:3], v[5:6], s[2:3]
	v_and_or_b32 v5, 0x8000, v7, v9
	v_cvt_f64_f32_e32 v[14:15], v1
	v_lshrrev_b32_e32 v26, v21, v19
	v_and_b32_e32 v7, 7, v25
	v_lshrrev_b32_e32 v1, 2, v25
	v_and_b32_e32 v6, 0xffff, v11
	v_lshlrev_b32_e32 v9, v21, v26
	v_cmp_lt_i32_e32 vcc_lo, 5, v7
	v_cmp_eq_u32_e64 s0, 3, v7
	v_lshl_or_b32 v21, v5, 16, v6
	ds_read2_b32 v[6:7], v123 offset0:48 offset1:148
	v_cmp_ne_u32_e64 s1, v9, v19
	v_add_nc_u32_e32 v9, 0xfffffc10, v20
	s_or_b32 vcc_lo, s0, vcc_lo
	s_mul_hi_u32 s0, s8, 0x4b0
	v_add_co_ci_u32_e32 v1, vcc_lo, 0, v1, vcc_lo
	v_cmp_ne_u32_e32 vcc_lo, 0, v18
	v_cndmask_b32_e64 v5, 0, 1, s1
	v_lshl_or_b32 v11, v9, 12, v24
	v_and_or_b32 v2, 0x1ff, v3, v2
	v_bfe_u32 v19, v3, 20, 11
	v_cndmask_b32_e64 v18, 0, 1, vcc_lo
	v_cmp_gt_i32_e32 vcc_lo, 31, v22
	v_or_b32_e32 v5, v26, v5
	v_mul_f64 v[14:15], v[14:15], s[2:3]
	v_cmp_eq_u32_e64 s1, 0x40f, v22
	v_lshl_or_b32 v18, v18, 9, 0x7c00
	v_cndmask_b32_e32 v1, 0x7c00, v1, vcc_lo
	v_cmp_gt_i32_e32 vcc_lo, 1, v9
	s_waitcnt lgkmcnt(0)
	v_lshrrev_b32_e32 v23, 16, v6
	s_add_i32 s4, s0, s4
	v_cndmask_b32_e64 v18, v1, v18, s1
	v_cndmask_b32_e32 v5, v11, v5, vcc_lo
	v_cmp_ne_u32_e32 vcc_lo, 0, v2
	v_lshrrev_b32_e32 v11, 8, v3
	v_mul_f16_sdwa v25, v111, v23 dst_sel:DWORD dst_unused:UNUSED_PAD src0_sel:WORD_1 src1_sel:DWORD
	v_and_or_b32 v12, 0x8000, v12, v18
	v_and_b32_e32 v20, 7, v5
	v_cndmask_b32_e64 v2, 0, 1, vcc_lo
	v_lshrrev_b32_e32 v1, 2, v5
	v_fmac_f16_e32 v25, v111, v6
	v_mul_f16_sdwa v18, v111, v6 dst_sel:DWORD dst_unused:UNUSED_PAD src0_sel:WORD_1 src1_sel:DWORD
	v_cmp_lt_i32_e32 vcc_lo, 5, v20
	v_cmp_eq_u32_e64 s0, 3, v20
	v_and_or_b32 v11, 0xffe, v11, v2
	v_sub_nc_u32_e32 v2, 0x3f1, v19
	v_and_or_b32 v14, 0x1ff, v15, v14
	v_cvt_f32_f16_e32 v22, v25
	s_or_b32 vcc_lo, s0, vcc_lo
	v_or_b32_e32 v20, 0x1000, v11
	v_med3_i32 v2, v2, 0, 13
	v_add_co_ci_u32_e32 v1, vcc_lo, 0, v1, vcc_lo
	v_cmp_gt_i32_e32 vcc_lo, 31, v9
	v_bfe_u32 v27, v15, 20, 11
	v_lshrrev_b32_e32 v5, v2, v20
	v_add_nc_u32_e32 v19, 0xfffffc10, v19
	v_and_b32_e32 v12, 0xffff, v12
	v_cndmask_b32_e32 v26, 0x7c00, v1, vcc_lo
	v_cmp_ne_u32_e32 vcc_lo, 0, v14
	v_lshlrev_b32_e32 v25, v2, v5
	v_cvt_f64_f32_e32 v[1:2], v22
	v_lshrrev_b32_e32 v22, 8, v15
	v_lshrrev_b32_e32 v3, 16, v3
	v_cndmask_b32_e64 v14, 0, 1, vcc_lo
	v_cmp_ne_u32_e32 vcc_lo, 0, v24
	v_and_or_b32 v14, 0xffe, v22, v14
	v_cndmask_b32_e64 v24, 0, 1, vcc_lo
	v_cmp_ne_u32_e32 vcc_lo, v25, v20
	v_sub_nc_u32_e32 v22, 0x3f1, v27
	v_or_b32_e32 v25, 0x1000, v14
	v_lshl_or_b32 v24, v24, 9, 0x7c00
	v_cndmask_b32_e64 v20, 0, 1, vcc_lo
	v_med3_i32 v22, v22, 0, 13
	v_cmp_eq_u32_e32 vcc_lo, 0x40f, v9
	v_or_b32_e32 v5, v5, v20
	v_lshl_or_b32 v20, v19, 12, v11
	v_cndmask_b32_e32 v9, v26, v24, vcc_lo
	v_cmp_gt_i32_e32 vcc_lo, 1, v19
	v_lshrrev_b32_e32 v24, v22, v25
	v_cndmask_b32_e32 v20, v20, v5, vcc_lo
	v_mul_f64 v[5:6], v[1:2], s[2:3]
	v_lshlrev_b32_e32 v2, v22, v24
	v_fma_f16 v1, v111, v23, -v18
	v_and_or_b32 v18, 0x8000, v8, v9
	v_add_co_u32 v8, vcc_lo, v16, s5
	v_add_co_ci_u32_e32 v9, vcc_lo, s4, v17, vcc_lo
	v_and_b32_e32 v22, 7, v20
	v_cmp_ne_u32_e32 vcc_lo, v2, v25
	v_lshrrev_b32_e32 v20, 2, v20
	v_add_nc_u32_e32 v17, 0xfffffc10, v27
	v_cvt_f32_f16_e32 v1, v1
	v_cmp_eq_u32_e64 s0, 3, v22
	v_cndmask_b32_e64 v16, 0, 1, vcc_lo
	v_cmp_lt_i32_e32 vcc_lo, 5, v22
	v_lshl_or_b32 v22, v17, 12, v14
	v_cvt_f64_f32_e32 v[1:2], v1
	v_lshl_or_b32 v18, v18, 16, v12
	v_or_b32_e32 v16, v24, v16
	s_or_b32 vcc_lo, s0, vcc_lo
	v_add_co_ci_u32_e32 v20, vcc_lo, 0, v20, vcc_lo
	v_cmp_gt_i32_e32 vcc_lo, 1, v17
	v_and_or_b32 v5, 0x1ff, v6, v5
	v_lshrrev_b32_e32 v23, 8, v6
	v_bfe_u32 v24, v6, 20, 11
	v_lshrrev_b32_e32 v6, 16, v6
	v_cndmask_b32_e32 v16, v22, v16, vcc_lo
	v_cmp_ne_u32_e32 vcc_lo, 0, v11
	v_and_b32_e32 v25, 7, v16
	v_cndmask_b32_e64 v22, 0, 1, vcc_lo
	v_cmp_gt_i32_e32 vcc_lo, 31, v19
	v_lshrrev_b32_e32 v16, 2, v16
	v_cmp_eq_u32_e64 s0, 3, v25
	v_mul_f64 v[11:12], v[1:2], s[2:3]
	v_cndmask_b32_e32 v20, 0x7c00, v20, vcc_lo
	v_cmp_ne_u32_e32 vcc_lo, 0, v5
	ds_read2_b32 v[1:2], v122 offset0:120 offset1:220
	v_lshl_or_b32 v22, v22, 9, 0x7c00
	v_cndmask_b32_e64 v5, 0, 1, vcc_lo
	v_cmp_lt_i32_e32 vcc_lo, 5, v25
	v_and_or_b32 v5, 0xffe, v23, v5
	s_or_b32 vcc_lo, s0, vcc_lo
	v_sub_nc_u32_e32 v23, 0x3f1, v24
	v_add_co_ci_u32_e32 v16, vcc_lo, 0, v16, vcc_lo
	v_cmp_ne_u32_e32 vcc_lo, 0, v14
	v_or_b32_e32 v25, 0x1000, v5
	v_med3_i32 v23, v23, 0, 13
	v_cndmask_b32_e64 v14, 0, 1, vcc_lo
	v_cmp_eq_u32_e32 vcc_lo, 0x40f, v19
	v_lshrrev_b32_e32 v26, v23, v25
	v_and_or_b32 v11, 0x1ff, v12, v11
	v_lshl_or_b32 v14, v14, 9, 0x7c00
	v_cndmask_b32_e32 v19, v20, v22, vcc_lo
	v_cmp_gt_i32_e32 vcc_lo, 31, v17
	s_waitcnt lgkmcnt(0)
	v_lshrrev_b32_e32 v20, 16, v2
	v_lshlrev_b32_e32 v22, v23, v26
	v_and_or_b32 v3, 0x8000, v3, v19
	v_cndmask_b32_e32 v16, 0x7c00, v16, vcc_lo
	v_cmp_eq_u32_e32 vcc_lo, 0x40f, v17
	v_mul_f16_sdwa v19, v109, v20 dst_sel:DWORD dst_unused:UNUSED_PAD src0_sel:WORD_1 src1_sel:DWORD
	v_cndmask_b32_e32 v23, v16, v14, vcc_lo
	v_cmp_ne_u32_e32 vcc_lo, v22, v25
	v_fmac_f16_e32 v19, v109, v2
	v_lshrrev_b32_e32 v16, 8, v12
	v_add_nc_u32_e32 v22, 0xfffffc10, v24
	v_mul_f16_sdwa v2, v109, v2 dst_sel:DWORD dst_unused:UNUSED_PAD src0_sel:WORD_1 src1_sel:DWORD
	v_cndmask_b32_e64 v14, 0, 1, vcc_lo
	v_cmp_ne_u32_e32 vcc_lo, 0, v11
	v_cvt_f32_f16_e32 v17, v19
	v_bfe_u32 v19, v12, 20, 11
	v_lshl_or_b32 v24, v22, 12, v5
	v_or_b32_e32 v14, v26, v14
	v_cndmask_b32_e64 v11, 0, 1, vcc_lo
	v_cmp_gt_i32_e32 vcc_lo, 1, v22
	v_sub_nc_u32_e32 v25, 0x3f1, v19
	v_lshrrev_b32_e32 v26, 16, v15
	v_fma_f16 v2, v109, v20, -v2
	v_and_or_b32 v11, 0xffe, v16, v11
	v_cvt_f64_f32_e32 v[16:17], v17
	v_med3_i32 v25, v25, 0, 13
	v_cndmask_b32_e32 v24, v24, v14, vcc_lo
	v_and_or_b32 v23, 0x8000, v26, v23
	v_or_b32_e32 v27, 0x1000, v11
	v_and_b32_e32 v26, 0xffff, v3
	v_add_co_u32 v14, vcc_lo, v8, s5
	v_and_b32_e32 v3, 7, v24
	v_lshrrev_b32_e32 v28, v25, v27
	v_add_co_ci_u32_e32 v15, vcc_lo, s4, v9, vcc_lo
	global_store_dword v[8:9], v21, off
	global_store_dword v[14:15], v18, off
	v_lshlrev_b32_e32 v20, v25, v28
	v_cmp_lt_i32_e32 vcc_lo, 5, v3
	v_cmp_eq_u32_e64 s0, 3, v3
	v_lshrrev_b32_e32 v9, 2, v24
	v_cvt_f32_f16_e32 v2, v2
	v_cmp_ne_u32_e64 s1, v20, v27
	v_add_nc_u32_e32 v20, 0xfffffc10, v19
	v_mul_f64 v[16:17], v[16:17], s[2:3]
	s_or_b32 vcc_lo, s0, vcc_lo
	v_cvt_f64_f32_e32 v[2:3], v2
	v_add_co_ci_u32_e32 v19, vcc_lo, 0, v9, vcc_lo
	v_cndmask_b32_e64 v8, 0, 1, s1
	v_cmp_ne_u32_e32 vcc_lo, 0, v5
	v_lshl_or_b32 v18, v20, 12, v11
	v_lshl_or_b32 v21, v23, 16, v26
	v_lshrrev_b32_e32 v12, 16, v12
	v_or_b32_e32 v8, v28, v8
	v_cndmask_b32_e64 v5, 0, 1, vcc_lo
	v_cmp_gt_i32_e32 vcc_lo, 1, v20
	v_lshl_or_b32 v5, v5, 9, 0x7c00
	v_cndmask_b32_e32 v23, v18, v8, vcc_lo
	v_cmp_gt_i32_e32 vcc_lo, 31, v22
	ds_read2_b32 v[8:9], v121 offset0:8 offset1:108
	v_and_or_b32 v16, 0x1ff, v17, v16
	v_cndmask_b32_e32 v24, 0x7c00, v19, vcc_lo
	v_add_co_u32 v14, vcc_lo, v14, s5
	v_add_co_ci_u32_e32 v15, vcc_lo, s4, v15, vcc_lo
	v_cmp_eq_u32_e32 vcc_lo, 0x40f, v22
	v_and_b32_e32 v25, 7, v23
	v_mul_f64 v[18:19], v[2:3], s[2:3]
	v_lshrrev_b32_e32 v3, 8, v17
	v_lshrrev_b32_e32 v22, 2, v23
	v_cndmask_b32_e32 v5, v24, v5, vcc_lo
	v_cmp_ne_u32_e32 vcc_lo, 0, v16
	v_cmp_eq_u32_e64 s0, 3, v25
	v_bfe_u32 v16, v17, 20, 11
	global_store_dword v[14:15], v21, off
	v_lshrrev_b32_e32 v17, 16, v17
	v_cndmask_b32_e64 v2, 0, 1, vcc_lo
	v_cmp_lt_i32_e32 vcc_lo, 5, v25
	s_waitcnt lgkmcnt(0)
	v_lshrrev_b32_e32 v24, 16, v8
	v_and_or_b32 v23, 0xffe, v3, v2
	s_or_b32 vcc_lo, s0, vcc_lo
	v_sub_nc_u32_e32 v2, 0x3f1, v16
	v_add_co_ci_u32_e32 v3, vcc_lo, 0, v22, vcc_lo
	v_cmp_ne_u32_e32 vcc_lo, 0, v11
	v_mul_f16_sdwa v22, v108, v24 dst_sel:DWORD dst_unused:UNUSED_PAD src0_sel:WORD_1 src1_sel:DWORD
	v_or_b32_e32 v25, 0x1000, v23
	v_med3_i32 v2, v2, 0, 13
	v_add_nc_u32_e32 v16, 0xfffffc10, v16
	v_cndmask_b32_e64 v11, 0, 1, vcc_lo
	v_cmp_gt_i32_e32 vcc_lo, 31, v20
	v_fmac_f16_e32 v22, v108, v8
	v_lshrrev_b32_e32 v27, v2, v25
	v_mul_f16_sdwa v8, v108, v8 dst_sel:DWORD dst_unused:UNUSED_PAD src0_sel:WORD_1 src1_sel:DWORD
	v_lshl_or_b32 v11, v11, 9, 0x7c00
	v_cndmask_b32_e32 v26, 0x7c00, v3, vcc_lo
	v_and_or_b32 v3, 0x1ff, v19, v18
	v_cvt_f32_f16_e32 v18, v22
	v_lshlrev_b32_e32 v22, v2, v27
	v_fma_f16 v8, v108, v24, -v8
	v_cmp_ne_u32_e32 vcc_lo, 0, v3
	v_cvt_f64_f32_e32 v[2:3], v18
	v_lshrrev_b32_e32 v18, 8, v19
	v_cvt_f32_f16_e32 v8, v8
	v_cndmask_b32_e64 v28, 0, 1, vcc_lo
	v_cmp_eq_u32_e32 vcc_lo, 0x40f, v20
	v_bfe_u32 v20, v19, 20, 11
	v_and_or_b32 v18, 0xffe, v18, v28
	v_cndmask_b32_e32 v11, v26, v11, vcc_lo
	v_cmp_ne_u32_e32 vcc_lo, v22, v25
	v_sub_nc_u32_e32 v25, 0x3f1, v20
	v_and_or_b32 v26, 0x8000, v6, v5
	v_or_b32_e32 v28, 0x1000, v18
	v_lshl_or_b32 v6, v16, 12, v23
	v_cndmask_b32_e64 v22, 0, 1, vcc_lo
	v_cmp_gt_i32_e32 vcc_lo, 1, v16
	v_and_or_b32 v11, 0x8000, v12, v11
	v_or_b32_e32 v5, v27, v22
	v_med3_i32 v22, v25, 0, 13
	v_cndmask_b32_e32 v25, v6, v5, vcc_lo
	v_lshrrev_b32_e32 v27, v22, v28
	v_mul_f64 v[5:6], v[2:3], s[2:3]
	v_and_b32_e32 v2, 0xffff, v26
	v_and_b32_e32 v3, 7, v25
	v_lshlrev_b32_e32 v12, v22, v27
	v_lshl_or_b32 v22, v11, 16, v2
	v_cmp_lt_i32_e32 vcc_lo, 5, v3
	v_cmp_ne_u32_e64 s0, v12, v28
	v_cvt_f64_f32_e32 v[11:12], v8
	v_add_nc_u32_e32 v8, 0xfffffc10, v20
	v_lshrrev_b32_e32 v20, 2, v25
	v_cndmask_b32_e64 v21, 0, 1, s0
	v_cmp_eq_u32_e64 s0, 3, v3
	ds_read2_b32 v[2:3], v120 offset0:80 offset1:180
	v_lshl_or_b32 v24, v8, 12, v18
	v_or_b32_e32 v21, v27, v21
	s_or_b32 vcc_lo, s0, vcc_lo
	v_add_co_ci_u32_e32 v20, vcc_lo, 0, v20, vcc_lo
	v_cmp_ne_u32_e32 vcc_lo, 0, v23
	v_and_or_b32 v5, 0x1ff, v6, v5
	v_bfe_u32 v28, v6, 20, 11
	v_cndmask_b32_e64 v23, 0, 1, vcc_lo
	v_cmp_gt_i32_e32 vcc_lo, 1, v8
	v_lshl_or_b32 v23, v23, 9, 0x7c00
	v_cndmask_b32_e32 v24, v24, v21, vcc_lo
	v_add_co_u32 v14, vcc_lo, v14, s5
	v_add_co_ci_u32_e32 v15, vcc_lo, s4, v15, vcc_lo
	v_cmp_gt_i32_e32 vcc_lo, 31, v16
	v_and_b32_e32 v26, 7, v24
	s_waitcnt lgkmcnt(0)
	v_lshrrev_b32_e32 v27, 16, v3
	global_store_dword v[14:15], v22, off
	v_add_co_u32 v14, s1, v14, s5
	v_cndmask_b32_e32 v25, 0x7c00, v20, vcc_lo
	v_cmp_ne_u32_e32 vcc_lo, 0, v5
	v_mul_f64 v[20:21], v[11:12], s[2:3]
	v_lshrrev_b32_e32 v11, 8, v6
	v_cmp_eq_u32_e64 s0, 3, v26
	v_mul_f16_sdwa v12, v106, v27 dst_sel:DWORD dst_unused:UNUSED_PAD src0_sel:WORD_1 src1_sel:DWORD
	v_cndmask_b32_e64 v5, 0, 1, vcc_lo
	v_cmp_eq_u32_e32 vcc_lo, 0x40f, v16
	v_add_co_ci_u32_e64 v15, s1, s4, v15, s1
	v_fmac_f16_e32 v12, v106, v3
	v_and_or_b32 v5, 0xffe, v11, v5
	v_cndmask_b32_e32 v16, v25, v23, vcc_lo
	v_cmp_lt_i32_e32 vcc_lo, 5, v26
	v_lshrrev_b32_e32 v23, 2, v24
	v_sub_nc_u32_e32 v11, 0x3f1, v28
	v_or_b32_e32 v24, 0x1000, v5
	v_and_or_b32 v31, 0x8000, v17, v16
	s_or_b32 vcc_lo, s0, vcc_lo
	v_mul_f16_sdwa v3, v106, v3 dst_sel:DWORD dst_unused:UNUSED_PAD src0_sel:WORD_1 src1_sel:DWORD
	v_add_co_ci_u32_e32 v23, vcc_lo, 0, v23, vcc_lo
	v_med3_i32 v25, v11, 0, 13
	v_cmp_ne_u32_e32 vcc_lo, 0, v18
	v_cvt_f32_f16_e32 v11, v12
	v_and_or_b32 v20, 0x1ff, v21, v20
	v_lshrrev_b32_e32 v29, 8, v21
	v_lshrrev_b32_e32 v26, v25, v24
	v_cndmask_b32_e64 v18, 0, 1, vcc_lo
	v_cmp_gt_i32_e32 vcc_lo, 31, v8
	v_cvt_f64_f32_e32 v[11:12], v11
	v_bfe_u32 v30, v21, 20, 11
	v_lshlrev_b32_e32 v25, v25, v26
	v_lshl_or_b32 v18, v18, 9, 0x7c00
	v_cndmask_b32_e32 v23, 0x7c00, v23, vcc_lo
	v_cmp_ne_u32_e32 vcc_lo, 0, v20
	v_fma_f16 v3, v106, v27, -v3
	v_lshrrev_b32_e32 v6, 16, v6
	v_cndmask_b32_e64 v20, 0, 1, vcc_lo
	v_cmp_ne_u32_e32 vcc_lo, v25, v24
	v_add_nc_u32_e32 v24, 0xfffffc10, v28
	v_cvt_f32_f16_e32 v3, v3
	v_and_or_b32 v20, 0xffe, v29, v20
	v_cndmask_b32_e64 v16, 0, 1, vcc_lo
	v_cmp_eq_u32_e32 vcc_lo, 0x40f, v8
	v_cmp_eq_u32_e64 s1, 0x40f, v24
	v_or_b32_e32 v25, 0x1000, v20
	v_cndmask_b32_e32 v8, v23, v18, vcc_lo
	v_sub_nc_u32_e32 v18, 0x3f1, v30
	v_or_b32_e32 v23, v26, v16
	v_lshl_or_b32 v26, v24, 12, v5
	v_mul_f64 v[16:17], v[11:12], s[2:3]
	v_cmp_gt_i32_e32 vcc_lo, 1, v24
	v_med3_i32 v11, v18, 0, 13
	v_lshrrev_b32_e32 v12, 16, v19
	v_cvt_f64_f32_e32 v[18:19], v3
	v_add_nc_u32_e32 v3, 0xfffffc10, v30
	v_cndmask_b32_e32 v23, v26, v23, vcc_lo
	v_lshrrev_b32_e32 v26, v11, v25
	v_and_or_b32 v8, 0x8000, v12, v8
	v_and_b32_e32 v12, 0xffff, v31
	v_lshl_or_b32 v22, v3, 12, v20
	v_and_b32_e32 v27, 7, v23
	v_lshlrev_b32_e32 v11, v11, v26
	v_lshl_or_b32 v8, v8, 16, v12
	v_lshrrev_b32_e32 v12, 2, v23
	v_cmp_lt_i32_e32 vcc_lo, 5, v27
	v_cmp_ne_u32_e64 s0, v11, v25
	global_store_dword v[14:15], v8, off
	v_cndmask_b32_e64 v11, 0, 1, s0
	v_cmp_eq_u32_e64 s0, 3, v27
	v_and_or_b32 v16, 0x1ff, v17, v16
	v_lshrrev_b32_e32 v25, 8, v17
	v_mul_f64 v[18:19], v[18:19], s[2:3]
	v_or_b32_e32 v11, v26, v11
	s_or_b32 vcc_lo, s0, vcc_lo
	v_bfe_u32 v26, v17, 20, 11
	v_add_co_ci_u32_e32 v23, vcc_lo, 0, v12, vcc_lo
	v_cmp_gt_i32_e32 vcc_lo, 1, v3
	v_cndmask_b32_e32 v22, v22, v11, vcc_lo
	v_cmp_ne_u32_e32 vcc_lo, 0, v16
	ds_read2_b32 v[11:12], v119 offset0:96 offset1:196
	v_and_b32_e32 v27, 7, v22
	v_cndmask_b32_e64 v16, 0, 1, vcc_lo
	v_cmp_ne_u32_e32 vcc_lo, 0, v5
	v_lshrrev_b32_e32 v22, 2, v22
	v_cmp_eq_u32_e64 s0, 3, v27
	v_and_or_b32 v16, 0xffe, v25, v16
	v_cndmask_b32_e64 v5, 0, 1, vcc_lo
	v_cmp_gt_i32_e32 vcc_lo, 31, v24
	v_sub_nc_u32_e32 v25, 0x3f1, v26
	v_and_or_b32 v18, 0x1ff, v19, v18
	v_or_b32_e32 v28, 0x1000, v16
	v_lshl_or_b32 v5, v5, 9, 0x7c00
	v_cndmask_b32_e32 v23, 0x7c00, v23, vcc_lo
	v_cmp_lt_i32_e32 vcc_lo, 5, v27
	v_med3_i32 v25, v25, 0, 13
	v_add_nc_u32_e32 v26, 0xfffffc10, v26
	s_waitcnt lgkmcnt(0)
	v_lshrrev_b32_e32 v24, 16, v11
	v_cndmask_b32_e64 v5, v23, v5, s1
	s_or_b32 vcc_lo, s0, vcc_lo
	v_lshrrev_b32_e32 v27, v25, v28
	v_add_co_ci_u32_e32 v22, vcc_lo, 0, v22, vcc_lo
	v_cmp_ne_u32_e32 vcc_lo, 0, v20
	v_mul_f16_sdwa v23, v105, v24 dst_sel:DWORD dst_unused:UNUSED_PAD src0_sel:WORD_1 src1_sel:DWORD
	v_lshlrev_b32_e32 v25, v25, v27
	v_bfe_u32 v30, v19, 20, 11
	v_and_or_b32 v5, 0x8000, v6, v5
	v_cndmask_b32_e64 v20, 0, 1, vcc_lo
	v_cmp_gt_i32_e32 vcc_lo, 31, v3
	v_fmac_f16_e32 v23, v105, v11
	v_mul_f16_sdwa v11, v105, v11 dst_sel:DWORD dst_unused:UNUSED_PAD src0_sel:WORD_1 src1_sel:DWORD
	v_add_co_u32 v14, s1, v14, s5
	v_cndmask_b32_e32 v29, 0x7c00, v22, vcc_lo
	v_cmp_ne_u32_e32 vcc_lo, v25, v28
	v_cvt_f32_f16_e32 v22, v23
	v_lshl_or_b32 v20, v20, 9, 0x7c00
	v_lshrrev_b32_e32 v28, 8, v19
	v_fma_f16 v11, v105, v24, -v11
	v_cndmask_b32_e64 v25, 0, 1, vcc_lo
	v_cmp_ne_u32_e32 vcc_lo, 0, v18
	v_cvt_f64_f32_e32 v[22:23], v22
	v_add_co_ci_u32_e64 v15, s1, s4, v15, s1
	v_or_b32_e32 v25, v27, v25
	v_cndmask_b32_e64 v18, 0, 1, vcc_lo
	v_cmp_eq_u32_e32 vcc_lo, 0x40f, v3
	v_lshl_or_b32 v27, v26, 12, v16
	v_cvt_f32_f16_e32 v6, v11
	v_and_or_b32 v18, 0xffe, v28, v18
	v_cndmask_b32_e32 v3, v29, v20, vcc_lo
	v_cmp_gt_i32_e32 vcc_lo, 1, v26
	v_sub_nc_u32_e32 v28, 0x3f1, v30
	v_lshrrev_b32_e32 v29, 16, v21
	v_cndmask_b32_e32 v25, v27, v25, vcc_lo
	v_or_b32_e32 v27, 0x1000, v18
	v_med3_i32 v28, v28, 0, 13
	v_and_or_b32 v3, 0x8000, v29, v3
	v_and_b32_e32 v24, 7, v25
	v_mul_f64 v[20:21], v[22:23], s[2:3]
	v_lshrrev_b32_e32 v8, v28, v27
	v_lshrrev_b32_e32 v11, 2, v25
	v_cvt_f64_f32_e32 v[22:23], v6
	v_cmp_lt_i32_e32 vcc_lo, 5, v24
	v_cmp_eq_u32_e64 s0, 3, v24
	v_lshlrev_b32_e32 v6, v28, v8
	v_add_nc_u32_e32 v24, 0xfffffc10, v30
	v_and_b32_e32 v25, 0xffff, v5
	s_or_b32 vcc_lo, s0, vcc_lo
	v_add_co_ci_u32_e32 v11, vcc_lo, 0, v11, vcc_lo
	v_cmp_ne_u32_e32 vcc_lo, v6, v27
	v_lshl_or_b32 v27, v24, 12, v18
	v_lshl_or_b32 v3, v3, 16, v25
	v_cndmask_b32_e64 v6, 0, 1, vcc_lo
	v_cmp_ne_u32_e32 vcc_lo, 0, v16
	global_store_dword v[14:15], v3, off
	v_and_or_b32 v20, 0x1ff, v21, v20
	v_lshrrev_b32_e32 v25, 8, v21
	v_or_b32_e32 v8, v8, v6
	v_cndmask_b32_e64 v16, 0, 1, vcc_lo
	v_cmp_gt_i32_e32 vcc_lo, 31, v26
	ds_read2_b32 v[5:6], v114 offset0:40 offset1:140
	v_mul_f64 v[22:23], v[22:23], s[2:3]
	v_lshl_or_b32 v16, v16, 9, 0x7c00
	v_cndmask_b32_e32 v11, 0x7c00, v11, vcc_lo
	v_cmp_gt_i32_e32 vcc_lo, 1, v24
	v_cndmask_b32_e32 v8, v27, v8, vcc_lo
	v_cmp_ne_u32_e32 vcc_lo, 0, v20
	v_bfe_u32 v27, v21, 20, 11
	v_cndmask_b32_e64 v20, 0, 1, vcc_lo
	v_cmp_eq_u32_e32 vcc_lo, 0x40f, v26
	v_lshrrev_b32_e32 v26, 16, v17
	v_sub_nc_u32_e32 v17, 0x3f1, v27
	v_add_nc_u32_e32 v27, 0xfffffc10, v27
	v_and_or_b32 v20, 0xffe, v25, v20
	v_cndmask_b32_e32 v11, v11, v16, vcc_lo
	v_and_b32_e32 v16, 7, v8
	s_waitcnt lgkmcnt(0)
	v_lshrrev_b32_e32 v25, 16, v6
	v_lshrrev_b32_e32 v8, 2, v8
	v_or_b32_e32 v28, 0x1000, v20
	v_and_or_b32 v22, 0x1ff, v23, v22
	v_cmp_lt_i32_e32 vcc_lo, 5, v16
	v_cmp_eq_u32_e64 s0, 3, v16
	v_med3_i32 v16, v17, 0, 13
	v_mul_f16_sdwa v17, v103, v25 dst_sel:DWORD dst_unused:UNUSED_PAD src0_sel:WORD_1 src1_sel:DWORD
	v_lshrrev_b32_e32 v31, 8, v23
	v_bfe_u32 v32, v23, 20, 11
	s_or_b32 vcc_lo, s0, vcc_lo
	v_lshrrev_b32_e32 v29, v16, v28
	v_add_co_ci_u32_e32 v8, vcc_lo, 0, v8, vcc_lo
	v_cmp_ne_u32_e32 vcc_lo, 0, v18
	v_fmac_f16_e32 v17, v103, v6
	v_lshlrev_b32_e32 v30, v16, v29
	v_mul_f16_sdwa v6, v103, v6 dst_sel:DWORD dst_unused:UNUSED_PAD src0_sel:WORD_1 src1_sel:DWORD
	v_and_or_b32 v11, 0x8000, v26, v11
	v_cndmask_b32_e64 v18, 0, 1, vcc_lo
	v_cmp_ne_u32_e32 vcc_lo, 0, v22
	v_cvt_f32_f16_e32 v16, v17
	v_fma_f16 v6, v103, v25, -v6
	v_lshl_or_b32 v18, v18, 9, 0x7c00
	v_cndmask_b32_e64 v22, 0, 1, vcc_lo
	v_cmp_ne_u32_e32 vcc_lo, v30, v28
	v_cvt_f64_f32_e32 v[16:17], v16
	v_sub_nc_u32_e32 v30, 0x3f1, v32
	v_cvt_f32_f16_e32 v6, v6
	v_and_or_b32 v22, 0xffe, v31, v22
	v_cndmask_b32_e64 v28, 0, 1, vcc_lo
	v_cmp_gt_i32_e32 vcc_lo, 31, v24
	v_med3_i32 v30, v30, 0, 13
	v_or_b32_e32 v31, 0x1000, v22
	v_or_b32_e32 v28, v29, v28
	v_cndmask_b32_e32 v8, 0x7c00, v8, vcc_lo
	v_lshl_or_b32 v29, v27, 12, v20
	v_cmp_gt_i32_e32 vcc_lo, 1, v27
	v_cndmask_b32_e32 v28, v29, v28, vcc_lo
	v_cmp_eq_u32_e32 vcc_lo, 0x40f, v24
	v_lshrrev_b32_e32 v29, v30, v31
	v_and_b32_e32 v24, 7, v28
	v_cndmask_b32_e32 v8, v8, v18, vcc_lo
	v_lshrrev_b32_e32 v18, 16, v19
	v_mul_f64 v[16:17], v[16:17], s[2:3]
	v_lshlrev_b32_e32 v25, v30, v29
	v_cmp_lt_i32_e32 vcc_lo, 5, v24
	v_cmp_eq_u32_e64 s0, 3, v24
	v_and_or_b32 v8, 0x8000, v18, v8
	v_cvt_f64_f32_e32 v[18:19], v6
	v_and_b32_e32 v6, 0xffff, v11
	v_lshrrev_b32_e32 v11, 2, v28
	s_or_b32 vcc_lo, s0, vcc_lo
	v_cmp_ne_u32_e64 s1, v25, v31
	v_add_nc_u32_e32 v25, 0xfffffc10, v32
	v_lshl_or_b32 v6, v8, 16, v6
	v_add_co_ci_u32_e32 v11, vcc_lo, 0, v11, vcc_lo
	v_cmp_ne_u32_e32 vcc_lo, 0, v20
	v_cndmask_b32_e64 v24, 0, 1, s1
	v_lshrrev_b32_e32 v28, 16, v13
	v_cndmask_b32_e64 v3, 0, 1, vcc_lo
	v_cmp_gt_i32_e32 vcc_lo, 31, v27
	v_or_b32_e32 v20, v29, v24
	v_lshl_or_b32 v24, v25, 12, v22
	v_and_or_b32 v16, 0x1ff, v17, v16
	v_lshl_or_b32 v3, v3, 9, 0x7c00
	v_cndmask_b32_e32 v11, 0x7c00, v11, vcc_lo
	v_cmp_gt_i32_e32 vcc_lo, 1, v25
	v_mul_f64 v[18:19], v[18:19], s[2:3]
	v_lshrrev_b32_e32 v26, 8, v17
	v_cndmask_b32_e32 v8, v24, v20, vcc_lo
	v_cmp_eq_u32_e32 vcc_lo, 0x40f, v27
	v_bfe_u32 v27, v17, 20, 11
	v_and_b32_e32 v24, 7, v8
	v_cndmask_b32_e32 v3, v11, v3, vcc_lo
	v_cmp_ne_u32_e32 vcc_lo, 0, v16
	v_lshrrev_b32_e32 v11, 16, v21
	v_lshrrev_b32_e32 v8, 2, v8
	v_cmp_eq_u32_e64 s0, 3, v24
	v_cndmask_b32_e64 v16, 0, 1, vcc_lo
	v_add_co_u32 v20, vcc_lo, v14, s5
	v_add_co_ci_u32_e32 v21, vcc_lo, s4, v15, vcc_lo
	v_cmp_lt_i32_e32 vcc_lo, 5, v24
	v_and_or_b32 v16, 0xffe, v26, v16
	v_sub_nc_u32_e32 v15, 0x3f1, v27
	v_mul_f16_sdwa v14, v102, v28 dst_sel:DWORD dst_unused:UNUSED_PAD src0_sel:WORD_1 src1_sel:DWORD
	v_and_or_b32 v18, 0x1ff, v19, v18
	s_or_b32 vcc_lo, s0, vcc_lo
	v_or_b32_e32 v24, 0x1000, v16
	v_add_co_ci_u32_e32 v8, vcc_lo, 0, v8, vcc_lo
	v_med3_i32 v26, v15, 0, 13
	v_cmp_ne_u32_e32 vcc_lo, 0, v22
	v_fmac_f16_e32 v14, v102, v13
	v_lshrrev_b32_e32 v30, 8, v19
	v_bfe_u32 v31, v19, 20, 11
	v_lshrrev_b32_e32 v29, v26, v24
	v_cndmask_b32_e64 v22, 0, 1, vcc_lo
	v_cmp_ne_u32_e32 vcc_lo, 0, v18
	v_cvt_f32_f16_e32 v14, v14
	v_mul_f16_sdwa v13, v102, v13 dst_sel:DWORD dst_unused:UNUSED_PAD src0_sel:WORD_1 src1_sel:DWORD
	v_lshlrev_b32_e32 v26, v26, v29
	v_lshl_or_b32 v22, v22, 9, 0x7c00
	v_cndmask_b32_e64 v18, 0, 1, vcc_lo
	v_cmp_gt_i32_e32 vcc_lo, 31, v25
	v_cvt_f64_f32_e32 v[14:15], v14
	v_fma_f16 v13, v102, v28, -v13
	v_and_or_b32 v3, 0x8000, v11, v3
	v_and_or_b32 v18, 0xffe, v30, v18
	v_cndmask_b32_e32 v8, 0x7c00, v8, vcc_lo
	v_cmp_ne_u32_e32 vcc_lo, v26, v24
	v_sub_nc_u32_e32 v30, 0x3f1, v31
	v_add_nc_u32_e32 v26, 0xfffffc10, v27
	v_or_b32_e32 v27, 0x1000, v18
	v_cvt_f32_f16_e32 v13, v13
	v_cndmask_b32_e64 v24, 0, 1, vcc_lo
	v_med3_i32 v30, v30, 0, 13
	v_cmp_gt_i32_e32 vcc_lo, 1, v26
	v_and_b32_e32 v3, 0xffff, v3
	v_or_b32_e32 v24, v29, v24
	v_lshl_or_b32 v29, v26, 12, v16
	v_lshrrev_b32_e32 v32, v30, v27
	v_cndmask_b32_e32 v24, v29, v24, vcc_lo
	v_cmp_eq_u32_e32 vcc_lo, 0x40f, v25
	v_lshlrev_b32_e32 v28, v30, v32
	v_mul_f64 v[14:15], v[14:15], s[2:3]
	v_lshrrev_b32_e32 v25, 16, v23
	v_and_b32_e32 v11, 7, v24
	v_cndmask_b32_e32 v8, v8, v22, vcc_lo
	v_cmp_ne_u32_e64 s0, v28, v27
	v_cvt_f64_f32_e32 v[22:23], v13
	v_cmp_lt_i32_e32 vcc_lo, 5, v11
	v_and_or_b32 v8, 0x8000, v25, v8
	v_cndmask_b32_e64 v13, 0, 1, s0
	v_cmp_eq_u32_e64 s0, 3, v11
	v_add_nc_u32_e32 v25, 0xfffffc10, v31
	v_lshl_or_b32 v3, v8, 16, v3
	v_lshrrev_b32_e32 v8, 2, v24
	s_or_b32 vcc_lo, s0, vcc_lo
	v_or_b32_e32 v11, v32, v13
	v_lshl_or_b32 v13, v25, 12, v18
	v_add_co_ci_u32_e32 v8, vcc_lo, 0, v8, vcc_lo
	v_cmp_ne_u32_e32 vcc_lo, 0, v16
	v_and_or_b32 v24, 0x1ff, v15, v14
	v_lshrrev_b32_e32 v28, 8, v15
	v_bfe_u32 v29, v15, 20, 11
	v_cndmask_b32_e64 v14, 0, 1, vcc_lo
	v_cmp_gt_i32_e32 vcc_lo, 1, v25
	v_mul_f64 v[22:23], v[22:23], s[2:3]
	v_lshl_or_b32 v16, v14, 9, 0x7c00
	v_cndmask_b32_e32 v11, v13, v11, vcc_lo
	v_cmp_gt_i32_e32 vcc_lo, 31, v26
	ds_read2_b32 v[13:14], v110 offset0:144 offset1:244
	v_and_b32_e32 v27, 7, v11
	v_cndmask_b32_e32 v8, 0x7c00, v8, vcc_lo
	v_cmp_ne_u32_e32 vcc_lo, 0, v24
	v_lshrrev_b32_e32 v11, 2, v11
	v_cmp_eq_u32_e64 s0, 3, v27
	v_cndmask_b32_e64 v24, 0, 1, vcc_lo
	v_cmp_eq_u32_e32 vcc_lo, 0x40f, v26
	v_and_or_b32 v24, 0xffe, v28, v24
	v_cndmask_b32_e32 v8, v8, v16, vcc_lo
	v_cmp_lt_i32_e32 vcc_lo, 5, v27
	v_lshrrev_b32_e32 v16, 16, v17
	v_sub_nc_u32_e32 v17, 0x3f1, v29
	s_waitcnt lgkmcnt(0)
	v_lshrrev_b32_e32 v26, 16, v13
	v_and_or_b32 v22, 0x1ff, v23, v22
	s_or_b32 vcc_lo, s0, vcc_lo
	v_and_or_b32 v8, 0x8000, v16, v8
	v_add_co_ci_u32_e32 v11, vcc_lo, 0, v11, vcc_lo
	v_cmp_ne_u32_e32 vcc_lo, 0, v18
	v_or_b32_e32 v16, 0x1000, v24
	v_med3_i32 v17, v17, 0, 13
	v_mul_f16_sdwa v28, v100, v26 dst_sel:DWORD dst_unused:UNUSED_PAD src0_sel:WORD_1 src1_sel:DWORD
	v_lshrrev_b32_e32 v30, 8, v23
	v_cndmask_b32_e64 v18, 0, 1, vcc_lo
	v_cmp_gt_i32_e32 vcc_lo, 31, v25
	v_lshrrev_b32_e32 v27, v17, v16
	v_fmac_f16_e32 v28, v100, v13
	v_bfe_u32 v31, v23, 20, 11
	v_lshl_or_b32 v18, v18, 9, 0x7c00
	v_cndmask_b32_e32 v11, 0x7c00, v11, vcc_lo
	v_cmp_ne_u32_e32 vcc_lo, 0, v22
	v_lshlrev_b32_e32 v17, v17, v27
	v_cvt_f32_f16_e32 v28, v28
	v_mul_f16_sdwa v13, v100, v13 dst_sel:DWORD dst_unused:UNUSED_PAD src0_sel:WORD_1 src1_sel:DWORD
	v_and_b32_e32 v8, 0xffff, v8
	v_cndmask_b32_e64 v22, 0, 1, vcc_lo
	v_cmp_ne_u32_e32 vcc_lo, v17, v16
	v_cvt_f64_f32_e32 v[16:17], v28
	v_add_nc_u32_e32 v28, 0xfffffc10, v29
	v_and_or_b32 v22, 0xffe, v30, v22
	v_sub_nc_u32_e32 v30, 0x3f1, v31
	v_cndmask_b32_e64 v32, 0, 1, vcc_lo
	v_cmp_eq_u32_e32 vcc_lo, 0x40f, v25
	v_lshrrev_b32_e32 v25, 16, v19
	v_or_b32_e32 v33, 0x1000, v22
	v_med3_i32 v30, v30, 0, 13
	v_or_b32_e32 v27, v27, v32
	v_cndmask_b32_e32 v11, v11, v18, vcc_lo
	v_add_co_u32 v18, vcc_lo, v20, s5
	v_add_co_ci_u32_e32 v19, vcc_lo, s4, v21, vcc_lo
	v_lshrrev_b32_e32 v29, v30, v33
	v_lshl_or_b32 v32, v28, 12, v24
	v_cmp_gt_i32_e32 vcc_lo, 1, v28
	v_and_or_b32 v11, 0x8000, v25, v11
	global_store_dword v[20:21], v6, off
	global_store_dword v[18:19], v3, off
	v_lshlrev_b32_e32 v30, v30, v29
	v_fma_f16 v6, v100, v26, -v13
	v_cndmask_b32_e32 v25, v32, v27, vcc_lo
	v_mul_f64 v[16:17], v[16:17], s[2:3]
	v_add_nc_u32_e32 v26, 0xfffffc10, v31
	v_cmp_ne_u32_e32 vcc_lo, v30, v33
	v_cvt_f32_f16_e32 v6, v6
	v_and_b32_e32 v3, 7, v25
	v_cmp_gt_i32_e64 s1, 1, v26
	v_cndmask_b32_e64 v13, 0, 1, vcc_lo
	v_cvt_f64_f32_e32 v[20:21], v6
	v_cmp_lt_i32_e32 vcc_lo, 5, v3
	v_cmp_eq_u32_e64 s0, 3, v3
	v_lshl_or_b32 v6, v11, 16, v8
	v_lshrrev_b32_e32 v8, 2, v25
	v_or_b32_e32 v3, v29, v13
	v_lshl_or_b32 v13, v26, 12, v22
	s_or_b32 vcc_lo, s0, vcc_lo
	v_lshrrev_b32_e32 v25, 16, v10
	v_add_co_ci_u32_e32 v8, vcc_lo, 0, v8, vcc_lo
	v_cmp_ne_u32_e32 vcc_lo, 0, v24
	v_cndmask_b32_e64 v3, v13, v3, s1
	v_mul_f16_sdwa v27, v99, v25 dst_sel:DWORD dst_unused:UNUSED_PAD src0_sel:WORD_1 src1_sel:DWORD
	v_and_or_b32 v16, 0x1ff, v17, v16
	v_bfe_u32 v24, v17, 20, 11
	v_cndmask_b32_e64 v11, 0, 1, vcc_lo
	v_add_co_u32 v18, vcc_lo, v18, s5
	v_add_co_ci_u32_e32 v19, vcc_lo, s4, v19, vcc_lo
	v_and_b32_e32 v13, 7, v3
	v_cmp_gt_i32_e32 vcc_lo, 31, v28
	v_mul_f64 v[20:21], v[20:21], s[2:3]
	v_lshrrev_b32_e32 v3, 2, v3
	v_cmp_ne_u32_e64 s1, 0, v16
	v_cmp_eq_u32_e64 s0, 3, v13
	v_cndmask_b32_e32 v8, 0x7c00, v8, vcc_lo
	v_cmp_lt_i32_e32 vcc_lo, 5, v13
	v_lshrrev_b32_e32 v16, 8, v17
	v_cndmask_b32_e64 v13, 0, 1, s1
	v_lshl_or_b32 v11, v11, 9, 0x7c00
	v_fmac_f16_e32 v27, v99, v10
	s_or_b32 vcc_lo, s0, vcc_lo
	global_store_dword v[18:19], v6, off
	v_add_co_ci_u32_e32 v3, vcc_lo, 0, v3, vcc_lo
	v_cmp_ne_u32_e32 vcc_lo, 0, v22
	v_and_or_b32 v13, 0xffe, v16, v13
	v_sub_nc_u32_e32 v16, 0x3f1, v24
	v_cvt_f32_f16_e32 v27, v27
	v_add_nc_u32_e32 v24, 0xfffffc10, v24
	v_cndmask_b32_e64 v22, 0, 1, vcc_lo
	v_cmp_eq_u32_e32 vcc_lo, 0x40f, v28
	v_or_b32_e32 v29, 0x1000, v13
	v_med3_i32 v16, v16, 0, 13
	v_and_or_b32 v20, 0x1ff, v21, v20
	v_lshl_or_b32 v22, v22, 9, 0x7c00
	v_cndmask_b32_e32 v8, v8, v11, vcc_lo
	v_cmp_gt_i32_e32 vcc_lo, 31, v26
	v_lshrrev_b32_e32 v11, v16, v29
	v_lshrrev_b32_e32 v28, 16, v15
	v_bfe_u32 v6, v21, 20, 11
	v_mul_f16_sdwa v10, v99, v10 dst_sel:DWORD dst_unused:UNUSED_PAD src0_sel:WORD_1 src1_sel:DWORD
	v_cndmask_b32_e32 v3, 0x7c00, v3, vcc_lo
	v_cmp_eq_u32_e32 vcc_lo, 0x40f, v26
	v_lshlrev_b32_e32 v30, v16, v11
	v_cvt_f64_f32_e32 v[15:16], v27
	v_and_or_b32 v8, 0x8000, v28, v8
	v_fma_f16 v10, v99, v25, -v10
	v_cndmask_b32_e32 v3, v3, v22, vcc_lo
	v_cmp_ne_u32_e32 vcc_lo, 0, v20
	v_lshrrev_b32_e32 v22, 16, v23
	v_lshrrev_b32_e32 v23, 8, v21
	v_and_b32_e32 v8, 0xffff, v8
	s_mul_i32 s0, s9, 0xffffd760
	v_cndmask_b32_e64 v20, 0, 1, vcc_lo
	v_cmp_ne_u32_e32 vcc_lo, v30, v29
	v_and_or_b32 v3, 0x8000, v22, v3
	s_sub_i32 s6, s0, s8
	v_lshrrev_b32_e32 v17, 16, v17
	v_and_or_b32 v20, 0xffe, v23, v20
	v_cndmask_b32_e64 v26, 0, 1, vcc_lo
	v_sub_nc_u32_e32 v23, 0x3f1, v6
	v_cmp_gt_i32_e32 vcc_lo, 1, v24
	v_lshl_or_b32 v3, v3, 16, v8
	v_or_b32_e32 v27, 0x1000, v20
	v_or_b32_e32 v11, v11, v26
	v_lshl_or_b32 v26, v24, 12, v13
	v_med3_i32 v23, v23, 0, 13
	v_mul_f64 v[15:16], v[15:16], s[2:3]
	v_cvt_f32_f16_e32 v8, v10
	v_add_nc_u32_e32 v6, 0xfffffc10, v6
	v_cndmask_b32_e32 v25, v26, v11, vcc_lo
	v_lshrrev_b32_e32 v26, v23, v27
	ds_read2_b32 v[10:11], v107 offset0:104 offset1:204
	v_mad_u64_u32 v[18:19], null, 0xffffd760, s8, v[18:19]
	v_and_b32_e32 v28, 7, v25
	v_lshlrev_b32_e32 v29, v23, v26
	v_cvt_f64_f32_e32 v[22:23], v8
	v_lshrrev_b32_e32 v8, 2, v25
	v_lshrrev_b32_e32 v21, 16, v21
	v_cmp_lt_i32_e32 vcc_lo, 5, v28
	v_cmp_eq_u32_e64 s0, 3, v28
	v_cmp_ne_u32_e64 s1, v29, v27
	v_add_nc_u32_e32 v19, s6, v19
	s_or_b32 vcc_lo, s0, vcc_lo
	v_cndmask_b32_e64 v25, 0, 1, s1
	v_add_co_ci_u32_e32 v8, vcc_lo, 0, v8, vcc_lo
	v_cmp_ne_u32_e32 vcc_lo, 0, v13
	v_and_or_b32 v15, 0x1ff, v16, v15
	v_or_b32_e32 v25, v26, v25
	v_lshl_or_b32 v26, v6, 12, v20
	v_cmp_eq_u32_e64 s1, 0x40f, v24
	v_cndmask_b32_e64 v13, 0, 1, vcc_lo
	v_cmp_gt_i32_e32 vcc_lo, 1, v6
	v_lshrrev_b32_e32 v27, 8, v16
	v_bfe_u32 v28, v16, 20, 11
	v_mul_f64 v[22:23], v[22:23], s[2:3]
	v_lshl_or_b32 v13, v13, 9, 0x7c00
	v_cndmask_b32_e32 v25, v26, v25, vcc_lo
	v_cmp_ne_u32_e32 vcc_lo, 0, v15
	s_waitcnt lgkmcnt(0)
	v_lshrrev_b32_e32 v26, 16, v10
	global_store_dword v[18:19], v3, off
	v_and_b32_e32 v30, 7, v25
	v_cndmask_b32_e64 v15, 0, 1, vcc_lo
	v_cmp_gt_i32_e32 vcc_lo, 31, v24
	v_mul_f16_sdwa v29, v97, v26 dst_sel:DWORD dst_unused:UNUSED_PAD src0_sel:WORD_1 src1_sel:DWORD
	v_cmp_eq_u32_e64 s0, 3, v30
	v_and_or_b32 v15, 0xffe, v27, v15
	v_cndmask_b32_e32 v8, 0x7c00, v8, vcc_lo
	v_cmp_lt_i32_e32 vcc_lo, 5, v30
	v_sub_nc_u32_e32 v27, 0x3f1, v28
	v_fmac_f16_e32 v29, v97, v10
	v_or_b32_e32 v31, 0x1000, v15
	v_cndmask_b32_e64 v8, v8, v13, s1
	v_lshrrev_b32_e32 v13, 2, v25
	s_or_b32 vcc_lo, s0, vcc_lo
	v_med3_i32 v27, v27, 0, 13
	v_cvt_f32_f16_e32 v29, v29
	v_and_or_b32 v22, 0x1ff, v23, v22
	v_add_co_ci_u32_e32 v13, vcc_lo, 0, v13, vcc_lo
	v_cmp_ne_u32_e32 vcc_lo, 0, v20
	v_lshrrev_b32_e32 v30, v27, v31
	v_cvt_f64_f32_e32 v[24:25], v29
	v_lshrrev_b32_e32 v29, 8, v23
	v_bfe_u32 v32, v23, 20, 11
	v_cndmask_b32_e64 v20, 0, 1, vcc_lo
	v_cmp_gt_i32_e32 vcc_lo, 31, v6
	v_lshlrev_b32_e32 v27, v27, v30
	v_add_nc_u32_e32 v28, 0xfffffc10, v28
	v_mul_f16_sdwa v10, v97, v10 dst_sel:DWORD dst_unused:UNUSED_PAD src0_sel:WORD_1 src1_sel:DWORD
	v_lshl_or_b32 v20, v20, 9, 0x7c00
	v_cndmask_b32_e32 v13, 0x7c00, v13, vcc_lo
	v_cmp_ne_u32_e32 vcc_lo, 0, v22
	v_and_or_b32 v8, 0x8000, v17, v8
	v_fma_f16 v10, v97, v26, -v10
	v_cndmask_b32_e64 v22, 0, 1, vcc_lo
	v_cmp_ne_u32_e32 vcc_lo, v27, v31
	v_cvt_f32_f16_e32 v10, v10
	v_and_b32_e32 v8, 0xffff, v8
	v_and_or_b32 v22, 0xffe, v29, v22
	v_cndmask_b32_e64 v27, 0, 1, vcc_lo
	v_cmp_eq_u32_e32 vcc_lo, 0x40f, v6
	v_mul_f64 v[24:25], v[24:25], s[2:3]
	v_or_b32_e32 v29, 0x1000, v22
	v_cndmask_b32_e32 v6, v13, v20, vcc_lo
	v_sub_nc_u32_e32 v13, 0x3f1, v32
	v_or_b32_e32 v20, v30, v27
	v_lshl_or_b32 v27, v28, 12, v15
	v_cmp_gt_i32_e32 vcc_lo, 1, v28
	v_and_or_b32 v6, 0x8000, v21, v6
	v_med3_i32 v13, v13, 0, 13
	v_cndmask_b32_e32 v17, v27, v20, vcc_lo
	v_cvt_f64_f32_e32 v[20:21], v10
	v_lshrrev_b32_e32 v26, v13, v29
	v_lshl_or_b32 v3, v6, 16, v8
	v_add_nc_u32_e32 v8, 0xfffffc10, v32
	v_and_b32_e32 v27, 7, v17
	v_lshlrev_b32_e32 v13, v13, v26
	v_and_or_b32 v10, 0x1ff, v25, v24
	v_cmp_lt_i32_e32 vcc_lo, 5, v27
	v_lshrrev_b32_e32 v24, 8, v25
	v_cmp_ne_u32_e64 s0, v13, v29
	v_lshrrev_b32_e32 v13, 2, v17
	v_cmp_ne_u32_e64 s1, 0, v10
	v_lshl_or_b32 v17, v8, 12, v22
	v_cndmask_b32_e64 v6, 0, 1, s0
	v_cmp_eq_u32_e64 s0, 3, v27
	v_cndmask_b32_e64 v10, 0, 1, s1
	v_cmp_eq_u32_e64 s1, 0x40f, v28
	v_or_b32_e32 v6, v26, v6
	s_or_b32 vcc_lo, s0, vcc_lo
	v_bfe_u32 v26, v25, 20, 11
	v_add_co_ci_u32_e32 v13, vcc_lo, 0, v13, vcc_lo
	v_cmp_gt_i32_e32 vcc_lo, 1, v8
	v_and_or_b32 v10, 0xffe, v24, v10
	v_mul_f64 v[20:21], v[20:21], s[2:3]
	v_lshrrev_b32_e32 v25, 16, v25
	v_cndmask_b32_e32 v6, v17, v6, vcc_lo
	v_cmp_ne_u32_e32 vcc_lo, 0, v15
	v_sub_nc_u32_e32 v17, 0x3f1, v26
	v_or_b32_e32 v27, 0x1000, v10
	v_add_nc_u32_e32 v26, 0xfffffc10, v26
	v_and_b32_e32 v24, 7, v6
	v_cndmask_b32_e64 v15, 0, 1, vcc_lo
	v_cmp_gt_i32_e32 vcc_lo, 31, v28
	v_med3_i32 v17, v17, 0, 13
	v_lshrrev_b32_e32 v6, 2, v6
	v_cmp_eq_u32_e64 s0, 3, v24
	v_lshl_or_b32 v15, v15, 9, 0x7c00
	v_cndmask_b32_e32 v13, 0x7c00, v13, vcc_lo
	v_cmp_lt_i32_e32 vcc_lo, 5, v24
	v_lshrrev_b32_e32 v29, v17, v27
	v_lshrrev_b32_e32 v28, 16, v16
	v_lshl_or_b32 v30, v26, 12, v10
	v_cndmask_b32_e64 v13, v13, v15, s1
	s_or_b32 vcc_lo, s0, vcc_lo
	v_lshlrev_b32_e32 v15, v17, v29
	v_add_co_ci_u32_e32 v6, vcc_lo, 0, v6, vcc_lo
	v_lshrrev_b32_e32 v17, 16, v7
	v_cmp_ne_u32_e32 vcc_lo, 0, v22
	v_and_or_b32 v16, 0x1ff, v21, v20
	v_and_or_b32 v13, 0x8000, v28, v13
	v_mul_f16_sdwa v24, v96, v17 dst_sel:DWORD dst_unused:UNUSED_PAD src0_sel:WORD_1 src1_sel:DWORD
	v_cndmask_b32_e64 v22, 0, 1, vcc_lo
	v_cmp_gt_i32_e32 vcc_lo, 31, v8
	v_and_b32_e32 v13, 0xffff, v13
	v_fmac_f16_e32 v24, v96, v7
	v_mul_f16_sdwa v7, v96, v7 dst_sel:DWORD dst_unused:UNUSED_PAD src0_sel:WORD_1 src1_sel:DWORD
	v_cndmask_b32_e32 v6, 0x7c00, v6, vcc_lo
	v_cmp_ne_u32_e32 vcc_lo, v15, v27
	v_bfe_u32 v27, v21, 20, 11
	v_lshl_or_b32 v22, v22, 9, 0x7c00
	v_fma_f16 v7, v96, v17, -v7
	v_cndmask_b32_e64 v15, 0, 1, vcc_lo
	v_cmp_ne_u32_e32 vcc_lo, 0, v16
	v_cvt_f32_f16_e32 v16, v24
	v_lshrrev_b32_e32 v24, 8, v21
	v_cvt_f32_f16_e32 v7, v7
	v_or_b32_e32 v29, v29, v15
	v_cndmask_b32_e64 v20, 0, 1, vcc_lo
	v_cvt_f64_f32_e32 v[15:16], v16
	v_cmp_gt_i32_e32 vcc_lo, 1, v26
	v_lshrrev_b32_e32 v21, 16, v21
	v_and_or_b32 v24, 0xffe, v24, v20
	v_sub_nc_u32_e32 v20, 0x3f1, v27
	v_cndmask_b32_e32 v29, v30, v29, vcc_lo
	v_cmp_eq_u32_e32 vcc_lo, 0x40f, v8
	v_lshrrev_b32_e32 v8, 16, v23
	v_or_b32_e32 v30, 0x1000, v24
	v_med3_i32 v20, v20, 0, 13
	v_add_nc_u32_e32 v27, 0xfffffc10, v27
	v_cndmask_b32_e32 v6, v6, v22, vcc_lo
	v_and_b32_e32 v22, 7, v29
	v_add_co_u32 v17, vcc_lo, v18, s5
	v_lshrrev_b32_e32 v23, v20, v30
	v_add_co_ci_u32_e32 v18, vcc_lo, s4, v19, vcc_lo
	v_cmp_lt_i32_e32 vcc_lo, 5, v22
	v_cmp_eq_u32_e64 s0, 3, v22
	v_and_or_b32 v6, 0x8000, v8, v6
	v_mul_f64 v[15:16], v[15:16], s[2:3]
	v_lshlrev_b32_e32 v8, v20, v23
	v_cvt_f64_f32_e32 v[19:20], v7
	v_lshrrev_b32_e32 v7, 2, v29
	s_or_b32 vcc_lo, s0, vcc_lo
	v_lshl_or_b32 v28, v27, 12, v24
	v_cmp_ne_u32_e64 s1, v8, v30
	v_lshl_or_b32 v6, v6, 16, v13
	v_add_co_ci_u32_e32 v22, vcc_lo, 0, v7, vcc_lo
	v_cmp_ne_u32_e32 vcc_lo, 0, v10
	v_cndmask_b32_e64 v8, 0, 1, s1
	global_store_dword v[17:18], v3, off
	v_cndmask_b32_e64 v10, 0, 1, vcc_lo
	v_cmp_gt_i32_e32 vcc_lo, 31, v26
	v_or_b32_e32 v23, v23, v8
	ds_read2_b32 v[7:8], v104 offset0:64 offset1:164
	v_lshl_or_b32 v10, v10, 9, 0x7c00
	v_cndmask_b32_e32 v22, 0x7c00, v22, vcc_lo
	v_cmp_gt_i32_e32 vcc_lo, 1, v27
	v_and_or_b32 v13, 0x1ff, v16, v15
	v_mul_f64 v[19:20], v[19:20], s[2:3]
	v_cndmask_b32_e32 v23, v28, v23, vcc_lo
	v_cmp_eq_u32_e32 vcc_lo, 0x40f, v26
	v_bfe_u32 v26, v16, 20, 11
	v_and_b32_e32 v15, 7, v23
	v_cndmask_b32_e32 v10, v22, v10, vcc_lo
	v_cmp_ne_u32_e32 vcc_lo, 0, v13
	v_lshrrev_b32_e32 v22, 8, v16
	v_cmp_eq_u32_e64 s0, 3, v15
	v_and_or_b32 v10, 0x8000, v25, v10
	v_cndmask_b32_e64 v13, 0, 1, vcc_lo
	v_cmp_lt_i32_e32 vcc_lo, 5, v15
	v_sub_nc_u32_e32 v15, 0x3f1, v26
	s_waitcnt lgkmcnt(0)
	v_lshrrev_b32_e32 v28, 16, v7
	v_add_nc_u32_e32 v26, 0xfffffc10, v26
	v_and_or_b32 v13, 0xffe, v22, v13
	v_lshrrev_b32_e32 v22, 2, v23
	s_or_b32 vcc_lo, s0, vcc_lo
	v_med3_i32 v15, v15, 0, 13
	v_and_or_b32 v19, 0x1ff, v20, v19
	v_or_b32_e32 v25, 0x1000, v13
	v_add_co_ci_u32_e32 v22, vcc_lo, 0, v22, vcc_lo
	v_cmp_ne_u32_e32 vcc_lo, 0, v24
	v_mul_f16_sdwa v23, v95, v28 dst_sel:DWORD dst_unused:UNUSED_PAD src0_sel:WORD_1 src1_sel:DWORD
	v_lshrrev_b32_e32 v29, v15, v25
	v_bfe_u32 v32, v20, 20, 11
	v_lshrrev_b32_e32 v31, 8, v20
	v_cndmask_b32_e64 v24, 0, 1, vcc_lo
	v_cmp_gt_i32_e32 vcc_lo, 31, v27
	v_lshlrev_b32_e32 v15, v15, v29
	v_fmac_f16_e32 v23, v95, v7
	v_and_b32_e32 v10, 0xffff, v10
	v_lshl_or_b32 v24, v24, 9, 0x7c00
	v_cndmask_b32_e32 v30, 0x7c00, v22, vcc_lo
	v_cmp_ne_u32_e32 vcc_lo, 0, v19
	v_cvt_f32_f16_e32 v22, v23
	v_mul_f16_sdwa v7, v95, v7 dst_sel:DWORD dst_unused:UNUSED_PAD src0_sel:WORD_1 src1_sel:DWORD
	v_lshrrev_b32_e32 v20, 16, v20
	v_cndmask_b32_e64 v19, 0, 1, vcc_lo
	v_cmp_eq_u32_e32 vcc_lo, 0x40f, v27
	v_cvt_f64_f32_e32 v[22:23], v22
	v_fma_f16 v7, v95, v28, -v7
	v_add_nc_u32_e32 v28, 0xfffffc10, v32
	v_and_or_b32 v19, 0xffe, v31, v19
	v_cndmask_b32_e32 v27, v30, v24, vcc_lo
	v_cmp_ne_u32_e32 vcc_lo, v15, v25
	v_sub_nc_u32_e32 v24, 0x3f1, v32
	v_or_b32_e32 v30, 0x1000, v19
	v_and_or_b32 v27, 0x8000, v21, v27
	v_cndmask_b32_e64 v15, 0, 1, vcc_lo
	v_med3_i32 v31, v24, 0, 13
	v_add_co_u32 v24, vcc_lo, v17, s5
	v_add_co_ci_u32_e32 v25, vcc_lo, s4, v18, vcc_lo
	v_or_b32_e32 v15, v29, v15
	v_lshl_or_b32 v29, v26, 12, v13
	v_cmp_gt_i32_e32 vcc_lo, 1, v26
	v_lshl_or_b32 v27, v27, 16, v10
	global_store_dword v[24:25], v6, off
	v_cvt_f32_f16_e32 v6, v7
	v_mul_f64 v[21:22], v[22:23], s[2:3]
	v_cndmask_b32_e32 v15, v29, v15, vcc_lo
	v_lshrrev_b32_e32 v29, v31, v30
	v_cvt_f64_f32_e32 v[6:7], v6
	v_and_b32_e32 v3, 7, v15
	v_lshlrev_b32_e32 v17, v31, v29
	v_cmp_lt_i32_e32 vcc_lo, 5, v3
	v_cmp_ne_u32_e64 s0, v17, v30
	v_lshrrev_b32_e32 v30, 16, v9
	v_cndmask_b32_e64 v10, 0, 1, s0
	v_cmp_eq_u32_e64 s0, 3, v3
	v_lshrrev_b32_e32 v3, 2, v15
	v_lshl_or_b32 v15, v28, 12, v19
	v_or_b32_e32 v10, v29, v10
	s_or_b32 vcc_lo, s0, vcc_lo
	v_and_or_b32 v21, 0x1ff, v22, v21
	v_add_co_ci_u32_e32 v3, vcc_lo, 0, v3, vcc_lo
	v_cmp_ne_u32_e32 vcc_lo, 0, v13
	v_bfe_u32 v29, v22, 20, 11
	v_cndmask_b32_e64 v13, 0, 1, vcc_lo
	v_cmp_gt_i32_e32 vcc_lo, 1, v28
	v_lshl_or_b32 v13, v13, 9, 0x7c00
	v_cndmask_b32_e32 v10, v15, v10, vcc_lo
	v_add_co_u32 v17, vcc_lo, v24, s5
	v_add_co_ci_u32_e32 v18, vcc_lo, s4, v25, vcc_lo
	v_cmp_gt_i32_e32 vcc_lo, 31, v26
	v_and_b32_e32 v15, 7, v10
	v_mul_f64 v[23:24], v[6:7], s[2:3]
	v_lshrrev_b32_e32 v25, 8, v22
	v_sub_nc_u32_e32 v6, 0x3f1, v29
	v_cndmask_b32_e32 v3, 0x7c00, v3, vcc_lo
	v_cmp_ne_u32_e32 vcc_lo, 0, v21
	v_cmp_eq_u32_e64 s0, 3, v15
	v_lshrrev_b32_e32 v10, 2, v10
	v_mul_f16_sdwa v7, v94, v30 dst_sel:DWORD dst_unused:UNUSED_PAD src0_sel:WORD_1 src1_sel:DWORD
	global_store_dword v[17:18], v27, off
	v_cndmask_b32_e64 v21, 0, 1, vcc_lo
	v_cmp_eq_u32_e32 vcc_lo, 0x40f, v26
	v_lshrrev_b32_e32 v22, 16, v22
	v_fmac_f16_e32 v7, v94, v9
	v_cndmask_b32_e32 v3, v3, v13, vcc_lo
	v_cmp_lt_i32_e32 vcc_lo, 5, v15
	v_and_or_b32 v13, 0xffe, v25, v21
	v_med3_i32 v21, v6, 0, 13
	v_cvt_f32_f16_e32 v7, v7
	s_or_b32 vcc_lo, s0, vcc_lo
	v_or_b32_e32 v15, 0x1000, v13
	v_add_co_ci_u32_e32 v6, vcc_lo, 0, v10, vcc_lo
	v_cmp_ne_u32_e32 vcc_lo, 0, v19
	v_lshrrev_b32_e32 v10, 16, v16
	v_lshrrev_b32_e32 v19, v21, v15
	v_and_or_b32 v23, 0x1ff, v24, v23
	v_cndmask_b32_e64 v16, 0, 1, vcc_lo
	v_cmp_gt_i32_e32 vcc_lo, 31, v28
	v_lshlrev_b32_e32 v21, v21, v19
	v_and_or_b32 v3, 0x8000, v10, v3
	v_lshl_or_b32 v16, v16, 9, 0x7c00
	v_cndmask_b32_e32 v25, 0x7c00, v6, vcc_lo
	v_cmp_eq_u32_e32 vcc_lo, 0x40f, v28
	v_cvt_f64_f32_e32 v[6:7], v7
	v_mul_f16_sdwa v28, v94, v9 dst_sel:DWORD dst_unused:UNUSED_PAD src0_sel:WORD_1 src1_sel:DWORD
	v_and_b32_e32 v3, 0xffff, v3
	v_cndmask_b32_e32 v16, v25, v16, vcc_lo
	v_cmp_ne_u32_e32 vcc_lo, 0, v23
	v_lshrrev_b32_e32 v23, 8, v24
	v_bfe_u32 v25, v24, 20, 11
	v_lshrrev_b32_e32 v24, 16, v24
	v_cndmask_b32_e64 v10, 0, 1, vcc_lo
	v_cmp_ne_u32_e32 vcc_lo, v21, v15
	v_add_nc_u32_e32 v21, 0xfffffc10, v29
	v_and_or_b32 v23, 0xffe, v23, v10
	v_cndmask_b32_e64 v15, 0, 1, vcc_lo
	v_sub_nc_u32_e32 v10, 0x3f1, v25
	v_cmp_gt_i32_e32 vcc_lo, 1, v21
	v_add_nc_u32_e32 v25, 0xfffffc10, v25
	v_or_b32_e32 v26, 0x1000, v23
	v_or_b32_e32 v15, v19, v15
	v_lshl_or_b32 v19, v21, 12, v13
	v_med3_i32 v29, v10, 0, 13
	v_mul_f64 v[9:10], v[6:7], s[2:3]
	v_fma_f16 v7, v94, v30, -v28
	v_cndmask_b32_e32 v6, v19, v15, vcc_lo
	v_and_or_b32 v15, 0x8000, v20, v16
	v_lshrrev_b32_e32 v19, v29, v26
	v_cvt_f32_f16_e32 v7, v7
	v_and_b32_e32 v20, 7, v6
	v_lshl_or_b32 v3, v15, 16, v3
	v_lshlrev_b32_e32 v27, v29, v19
	v_cvt_f64_f32_e32 v[15:16], v7
	v_cmp_lt_i32_e32 vcc_lo, 5, v20
	v_cmp_eq_u32_e64 s0, 3, v20
	v_lshrrev_b32_e32 v20, 2, v6
	ds_read2_b32 v[6:7], v101 offset0:152 offset1:252
	v_cmp_ne_u32_e64 s1, v27, v26
	s_or_b32 vcc_lo, s0, vcc_lo
	v_add_co_ci_u32_e32 v20, vcc_lo, 0, v20, vcc_lo
	v_add_co_u32 v17, vcc_lo, v17, s5
	v_add_co_ci_u32_e32 v18, vcc_lo, s4, v18, vcc_lo
	v_cndmask_b32_e64 v26, 0, 1, s1
	v_cmp_ne_u32_e32 vcc_lo, 0, v13
	v_and_or_b32 v9, 0x1ff, v10, v9
	v_lshrrev_b32_e32 v27, 8, v10
	v_bfe_u32 v28, v10, 20, 11
	v_or_b32_e32 v19, v19, v26
	v_lshl_or_b32 v26, v25, 12, v23
	v_cndmask_b32_e64 v13, 0, 1, vcc_lo
	v_cmp_gt_i32_e32 vcc_lo, 1, v25
	v_mul_f64 v[15:16], v[15:16], s[2:3]
	v_cmp_eq_u32_e64 s1, 0x40f, v21
	global_store_dword v[17:18], v3, off
	v_lshl_or_b32 v13, v13, 9, 0x7c00
	v_cndmask_b32_e32 v19, v26, v19, vcc_lo
	v_cmp_ne_u32_e32 vcc_lo, 0, v9
	s_waitcnt lgkmcnt(0)
	v_lshrrev_b32_e32 v26, 16, v6
	v_and_b32_e32 v30, 7, v19
	v_cndmask_b32_e64 v9, 0, 1, vcc_lo
	v_cmp_gt_i32_e32 vcc_lo, 31, v21
	v_mul_f16_sdwa v29, v93, v26 dst_sel:DWORD dst_unused:UNUSED_PAD src0_sel:WORD_1 src1_sel:DWORD
	v_lshrrev_b32_e32 v21, 2, v19
	v_cmp_eq_u32_e64 s0, 3, v30
	v_and_or_b32 v9, 0xffe, v27, v9
	v_cndmask_b32_e32 v20, 0x7c00, v20, vcc_lo
	v_cmp_lt_i32_e32 vcc_lo, 5, v30
	v_sub_nc_u32_e32 v27, 0x3f1, v28
	v_fmac_f16_e32 v29, v93, v6
	v_or_b32_e32 v31, 0x1000, v9
	v_cndmask_b32_e64 v13, v20, v13, s1
	s_or_b32 vcc_lo, s0, vcc_lo
	v_med3_i32 v27, v27, 0, 13
	v_add_co_ci_u32_e32 v21, vcc_lo, 0, v21, vcc_lo
	v_cmp_ne_u32_e32 vcc_lo, 0, v23
	v_cvt_f32_f16_e32 v29, v29
	v_lshrrev_b32_e32 v30, v27, v31
	v_and_or_b32 v15, 0x1ff, v16, v15
	v_bfe_u32 v32, v16, 20, 11
	v_cndmask_b32_e64 v23, 0, 1, vcc_lo
	v_cmp_gt_i32_e32 vcc_lo, 31, v25
	v_cvt_f64_f32_e32 v[19:20], v29
	v_lshlrev_b32_e32 v27, v27, v30
	v_lshrrev_b32_e32 v29, 8, v16
	v_lshl_or_b32 v23, v23, 9, 0x7c00
	v_cndmask_b32_e32 v21, 0x7c00, v21, vcc_lo
	v_cmp_ne_u32_e32 vcc_lo, 0, v15
	v_add_nc_u32_e32 v28, 0xfffffc10, v28
	v_mul_f16_sdwa v6, v93, v6 dst_sel:DWORD dst_unused:UNUSED_PAD src0_sel:WORD_1 src1_sel:DWORD
	v_and_or_b32 v13, 0x8000, v22, v13
	v_cndmask_b32_e64 v15, 0, 1, vcc_lo
	v_cmp_ne_u32_e32 vcc_lo, v27, v31
	v_fma_f16 v6, v93, v26, -v6
	v_and_b32_e32 v13, 0xffff, v13
	v_and_or_b32 v15, 0xffe, v29, v15
	v_cndmask_b32_e64 v27, 0, 1, vcc_lo
	v_cmp_eq_u32_e32 vcc_lo, 0x40f, v25
	v_cvt_f32_f16_e32 v6, v6
	v_or_b32_e32 v29, 0x1000, v15
	v_or_b32_e32 v25, v30, v27
	v_cndmask_b32_e32 v21, v21, v23, vcc_lo
	v_sub_nc_u32_e32 v23, 0x3f1, v32
	v_mul_f64 v[19:20], v[19:20], s[2:3]
	v_lshl_or_b32 v27, v28, 12, v9
	v_cmp_gt_i32_e32 vcc_lo, 1, v28
	v_and_or_b32 v21, 0x8000, v24, v21
	v_med3_i32 v23, v23, 0, 13
	v_cndmask_b32_e32 v25, v27, v25, vcc_lo
	v_lshl_or_b32 v3, v21, 16, v13
	v_lshrrev_b32_e32 v26, v23, v29
	v_cvt_f64_f32_e32 v[21:22], v6
	v_add_nc_u32_e32 v13, 0xfffffc10, v32
	v_and_b32_e32 v24, 7, v25
	v_lshlrev_b32_e32 v23, v23, v26
	v_cmp_lt_i32_e32 vcc_lo, 5, v24
	v_cmp_ne_u32_e64 s0, v23, v29
	v_lshrrev_b32_e32 v23, 2, v25
	v_and_or_b32 v19, 0x1ff, v20, v19
	v_lshrrev_b32_e32 v25, 8, v20
	v_cndmask_b32_e64 v6, 0, 1, s0
	v_cmp_eq_u32_e64 s0, 3, v24
	v_lshl_or_b32 v24, v13, 12, v15
	v_cmp_ne_u32_e64 s1, 0, v19
	v_or_b32_e32 v6, v26, v6
	s_or_b32 vcc_lo, s0, vcc_lo
	v_bfe_u32 v26, v20, 20, 11
	v_add_co_ci_u32_e32 v23, vcc_lo, 0, v23, vcc_lo
	v_cmp_gt_i32_e32 vcc_lo, 1, v13
	v_cndmask_b32_e64 v19, 0, 1, s1
	v_mul_f64 v[21:22], v[21:22], s[2:3]
	v_cmp_eq_u32_e64 s1, 0x40f, v28
	v_cndmask_b32_e32 v6, v24, v6, vcc_lo
	v_cmp_ne_u32_e32 vcc_lo, 0, v9
	v_and_or_b32 v19, 0xffe, v25, v19
	v_sub_nc_u32_e32 v24, 0x3f1, v26
	v_and_b32_e32 v25, 7, v6
	v_cndmask_b32_e64 v9, 0, 1, vcc_lo
	v_cmp_gt_i32_e32 vcc_lo, 31, v28
	v_or_b32_e32 v27, 0x1000, v19
	v_med3_i32 v24, v24, 0, 13
	v_cmp_eq_u32_e64 s0, 3, v25
	v_lshrrev_b32_e32 v6, 2, v6
	v_cndmask_b32_e32 v23, 0x7c00, v23, vcc_lo
	v_cmp_lt_i32_e32 vcc_lo, 5, v25
	v_lshl_or_b32 v9, v9, 9, 0x7c00
	v_lshrrev_b32_e32 v29, v24, v27
	v_lshrrev_b32_e32 v28, 16, v10
	s_or_b32 vcc_lo, s0, vcc_lo
	v_cndmask_b32_e64 v23, v23, v9, s1
	v_add_co_ci_u32_e32 v6, vcc_lo, 0, v6, vcc_lo
	v_lshlrev_b32_e32 v9, v24, v29
	v_lshrrev_b32_e32 v24, 16, v12
	v_cmp_ne_u32_e32 vcc_lo, 0, v15
	v_and_or_b32 v10, 0x1ff, v22, v21
	v_add_nc_u32_e32 v21, 0xfffffc10, v26
	v_and_or_b32 v23, 0x8000, v28, v23
	v_mul_f16_sdwa v25, v92, v24 dst_sel:DWORD dst_unused:UNUSED_PAD src0_sel:WORD_1 src1_sel:DWORD
	v_cndmask_b32_e64 v15, 0, 1, vcc_lo
	v_cmp_gt_i32_e32 vcc_lo, 31, v13
	v_lshl_or_b32 v30, v21, 12, v19
	v_and_b32_e32 v23, 0xffff, v23
	v_fmac_f16_e32 v25, v92, v12
	v_lshl_or_b32 v15, v15, 9, 0x7c00
	v_cndmask_b32_e32 v6, 0x7c00, v6, vcc_lo
	v_cmp_ne_u32_e32 vcc_lo, v9, v27
	v_bfe_u32 v27, v22, 20, 11
	v_mul_f16_sdwa v12, v92, v12 dst_sel:DWORD dst_unused:UNUSED_PAD src0_sel:WORD_1 src1_sel:DWORD
	v_cndmask_b32_e64 v9, 0, 1, vcc_lo
	v_cmp_ne_u32_e32 vcc_lo, 0, v10
	v_cvt_f32_f16_e32 v10, v25
	v_lshrrev_b32_e32 v25, 8, v22
	v_lshrrev_b32_e32 v22, 16, v22
	v_or_b32_e32 v29, v29, v9
	v_cndmask_b32_e64 v26, 0, 1, vcc_lo
	v_cvt_f64_f32_e32 v[9:10], v10
	v_cmp_gt_i32_e32 vcc_lo, 1, v21
	v_and_or_b32 v25, 0xffe, v25, v26
	v_sub_nc_u32_e32 v26, 0x3f1, v27
	v_cndmask_b32_e32 v29, v30, v29, vcc_lo
	v_cmp_eq_u32_e32 vcc_lo, 0x40f, v13
	v_or_b32_e32 v30, 0x1000, v25
	v_med3_i32 v26, v26, 0, 13
	v_and_b32_e32 v31, 7, v29
	v_cndmask_b32_e32 v6, v6, v15, vcc_lo
	v_lshrrev_b32_e32 v15, 16, v16
	v_fma_f16 v16, v92, v24, -v12
	v_add_co_u32 v12, vcc_lo, v17, s5
	v_lshrrev_b32_e32 v32, v26, v30
	v_add_co_ci_u32_e32 v13, vcc_lo, s4, v18, vcc_lo
	v_cvt_f32_f16_e32 v17, v16
	v_and_or_b32 v6, 0x8000, v15, v6
	v_lshlrev_b32_e32 v24, v26, v32
	v_mul_f64 v[15:16], v[9:10], s[2:3]
	v_cmp_lt_i32_e32 vcc_lo, 5, v31
	v_cvt_f64_f32_e32 v[17:18], v17
	v_cmp_eq_u32_e64 s0, 3, v31
	v_lshrrev_b32_e32 v9, 2, v29
	v_cmp_ne_u32_e64 s1, v24, v30
	v_add_nc_u32_e32 v26, 0xfffffc10, v27
	v_lshl_or_b32 v6, v6, 16, v23
	s_or_b32 vcc_lo, s0, vcc_lo
	v_add_co_ci_u32_e32 v24, vcc_lo, 0, v9, vcc_lo
	v_cndmask_b32_e64 v10, 0, 1, s1
	v_cmp_ne_u32_e32 vcc_lo, 0, v19
	v_lshl_or_b32 v28, v26, 12, v25
	v_or_b32_e32 v27, v32, v10
	v_cndmask_b32_e64 v19, 0, 1, vcc_lo
	v_cmp_gt_i32_e32 vcc_lo, 1, v26
	ds_read2_b32 v[9:10], v98 offset0:112 offset1:212
	v_and_or_b32 v15, 0x1ff, v16, v15
	v_lshl_or_b32 v19, v19, 9, 0x7c00
	v_cndmask_b32_e32 v27, v28, v27, vcc_lo
	v_cmp_gt_i32_e32 vcc_lo, 31, v21
	v_mul_f64 v[17:18], v[17:18], s[2:3]
	v_cmp_ne_u32_e64 s1, 0, v15
	v_bfe_u32 v29, v16, 20, 11
	v_and_b32_e32 v23, 7, v27
	v_cndmask_b32_e32 v24, 0x7c00, v24, vcc_lo
	v_cmp_eq_u32_e32 vcc_lo, 0x40f, v21
	v_cndmask_b32_e64 v15, 0, 1, s1
	v_lshrrev_b32_e32 v28, 16, v20
	v_cmp_eq_u32_e64 s0, 3, v23
	v_cndmask_b32_e32 v21, v24, v19, vcc_lo
	v_cmp_lt_i32_e32 vcc_lo, 5, v23
	v_lshrrev_b32_e32 v24, 2, v27
	v_lshrrev_b32_e32 v23, 8, v16
	s_waitcnt lgkmcnt(0)
	v_lshrrev_b32_e32 v30, 16, v9
	v_and_or_b32 v21, 0x8000, v28, v21
	s_or_b32 vcc_lo, s0, vcc_lo
	v_add_co_u32 v19, s1, v12, s5
	v_add_co_ci_u32_e32 v24, vcc_lo, 0, v24, vcc_lo
	v_and_or_b32 v15, 0xffe, v23, v15
	v_sub_nc_u32_e32 v23, 0x3f1, v29
	v_cmp_ne_u32_e32 vcc_lo, 0, v25
	v_mul_f16_sdwa v27, v91, v30 dst_sel:DWORD dst_unused:UNUSED_PAD src0_sel:WORD_1 src1_sel:DWORD
	v_and_or_b32 v17, 0x1ff, v18, v17
	v_or_b32_e32 v31, 0x1000, v15
	v_med3_i32 v23, v23, 0, 13
	v_cndmask_b32_e64 v25, 0, 1, vcc_lo
	v_cmp_gt_i32_e32 vcc_lo, 31, v26
	v_fmac_f16_e32 v27, v91, v9
	v_lshrrev_b32_e32 v34, 8, v18
	v_lshrrev_b32_e32 v32, v23, v31
	v_lshl_or_b32 v25, v25, 9, 0x7c00
	v_cndmask_b32_e32 v33, 0x7c00, v24, vcc_lo
	v_cmp_ne_u32_e32 vcc_lo, 0, v17
	v_cvt_f32_f16_e32 v24, v27
	v_lshlrev_b32_e32 v27, v23, v32
	v_bfe_u32 v35, v18, 20, 11
	v_mul_f16_sdwa v9, v91, v9 dst_sel:DWORD dst_unused:UNUSED_PAD src0_sel:WORD_1 src1_sel:DWORD
	v_cndmask_b32_e64 v17, 0, 1, vcc_lo
	v_cmp_eq_u32_e32 vcc_lo, 0x40f, v26
	v_cvt_f64_f32_e32 v[23:24], v24
	v_sub_nc_u32_e32 v28, 0x3f1, v35
	v_fma_f16 v9, v91, v30, -v9
	v_and_or_b32 v17, 0xffe, v34, v17
	v_cndmask_b32_e32 v25, v33, v25, vcc_lo
	v_cmp_ne_u32_e32 vcc_lo, v27, v31
	v_add_nc_u32_e32 v27, 0xfffffc10, v29
	v_med3_i32 v28, v28, 0, 13
	v_or_b32_e32 v29, 0x1000, v17
	v_and_or_b32 v25, 0x8000, v22, v25
	v_cndmask_b32_e64 v26, 0, 1, vcc_lo
	v_lshl_or_b32 v31, v27, 12, v15
	v_cmp_gt_i32_e32 vcc_lo, 1, v27
	v_add_co_ci_u32_e64 v20, s1, s4, v13, s1
	v_or_b32_e32 v26, v32, v26
	v_and_b32_e32 v32, 0xffff, v21
	global_store_dword v[12:13], v3, off
	global_store_dword v[19:20], v6, off
	v_cvt_f32_f16_e32 v3, v9
	v_add_nc_u32_e32 v9, 0xfffffc10, v35
	v_cndmask_b32_e32 v26, v31, v26, vcc_lo
	v_lshrrev_b32_e32 v31, v28, v29
	v_mul_f64 v[21:22], v[23:24], s[2:3]
	v_cvt_f64_f32_e32 v[12:13], v3
	v_lshl_or_b32 v3, v25, 16, v32
	v_and_b32_e32 v23, 7, v26
	v_lshlrev_b32_e32 v24, v28, v31
	v_lshrrev_b32_e32 v28, 16, v4
	v_lshrrev_b32_e32 v18, 16, v18
	v_cmp_lt_i32_e32 vcc_lo, 5, v23
	v_cmp_ne_u32_e64 s0, v24, v29
	v_lshl_or_b32 v24, v9, 12, v17
	v_cndmask_b32_e64 v6, 0, 1, s0
	v_cmp_eq_u32_e64 s0, 3, v23
	v_lshrrev_b32_e32 v23, 2, v26
	v_or_b32_e32 v6, v31, v6
	s_or_b32 vcc_lo, s0, vcc_lo
	v_add_co_ci_u32_e32 v23, vcc_lo, 0, v23, vcc_lo
	v_cmp_ne_u32_e32 vcc_lo, 0, v15
	v_and_or_b32 v21, 0x1ff, v22, v21
	v_mul_f64 v[12:13], v[12:13], s[2:3]
	v_lshrrev_b32_e32 v25, 8, v22
	v_bfe_u32 v26, v22, 20, 11
	v_cndmask_b32_e64 v15, 0, 1, vcc_lo
	v_cmp_gt_i32_e32 vcc_lo, 1, v9
	v_lshrrev_b32_e32 v22, 16, v22
	v_lshl_or_b32 v15, v15, 9, 0x7c00
	v_cndmask_b32_e32 v6, v24, v6, vcc_lo
	v_add_co_u32 v19, vcc_lo, v19, s5
	v_add_co_ci_u32_e32 v20, vcc_lo, s4, v20, vcc_lo
	v_cmp_gt_i32_e32 vcc_lo, 31, v27
	v_and_b32_e32 v24, 7, v6
	v_lshrrev_b32_e32 v6, 2, v6
	global_store_dword v[19:20], v3, off
	v_cndmask_b32_e32 v23, 0x7c00, v23, vcc_lo
	v_cmp_ne_u32_e32 vcc_lo, 0, v21
	v_cmp_eq_u32_e64 s0, 3, v24
	v_and_or_b32 v12, 0x1ff, v13, v12
	v_bfe_u32 v30, v13, 20, 11
	v_cndmask_b32_e64 v21, 0, 1, vcc_lo
	v_cmp_eq_u32_e32 vcc_lo, 0x40f, v27
	v_lshrrev_b32_e32 v27, 16, v16
	v_sub_nc_u32_e32 v16, 0x3f1, v26
	v_and_or_b32 v21, 0xffe, v25, v21
	v_cndmask_b32_e32 v23, v23, v15, vcc_lo
	v_cmp_lt_i32_e32 vcc_lo, 5, v24
	v_mul_f16_sdwa v15, v90, v28 dst_sel:DWORD dst_unused:UNUSED_PAD src0_sel:WORD_1 src1_sel:DWORD
	v_med3_i32 v25, v16, 0, 13
	v_or_b32_e32 v24, 0x1000, v21
	v_and_or_b32 v23, 0x8000, v27, v23
	s_or_b32 vcc_lo, s0, vcc_lo
	v_fmac_f16_e32 v15, v90, v4
	v_add_co_ci_u32_e32 v6, vcc_lo, 0, v6, vcc_lo
	v_cmp_ne_u32_e32 vcc_lo, 0, v17
	v_lshrrev_b32_e32 v29, v25, v24
	v_cvt_f32_f16_e32 v15, v15
	v_lshrrev_b32_e32 v27, 8, v13
	v_mul_f16_sdwa v4, v90, v4 dst_sel:DWORD dst_unused:UNUSED_PAD src0_sel:WORD_1 src1_sel:DWORD
	v_cndmask_b32_e64 v17, 0, 1, vcc_lo
	v_cmp_gt_i32_e32 vcc_lo, 31, v9
	v_cvt_f64_f32_e32 v[15:16], v15
	v_lshlrev_b32_e32 v25, v25, v29
	v_fma_f16 v4, v90, v28, -v4
	v_lshl_or_b32 v17, v17, 9, 0x7c00
	v_cndmask_b32_e32 v6, 0x7c00, v6, vcc_lo
	v_cmp_ne_u32_e32 vcc_lo, 0, v12
	v_lshrrev_b32_e32 v28, 16, v14
	v_cvt_f32_f16_e32 v4, v4
	v_cndmask_b32_e64 v12, 0, 1, vcc_lo
	v_cmp_eq_u32_e32 vcc_lo, 0x40f, v9
	v_and_or_b32 v12, 0xffe, v27, v12
	v_cndmask_b32_e32 v6, v6, v17, vcc_lo
	v_cmp_ne_u32_e32 vcc_lo, v25, v24
	v_sub_nc_u32_e32 v17, 0x3f1, v30
	v_add_nc_u32_e32 v24, 0xfffffc10, v26
	v_or_b32_e32 v25, 0x1000, v12
	v_and_or_b32 v6, 0x8000, v18, v6
	v_cndmask_b32_e64 v9, 0, 1, vcc_lo
	v_med3_i32 v17, v17, 0, 13
	v_lshl_or_b32 v26, v24, 12, v21
	v_cmp_gt_i32_e32 vcc_lo, 1, v24
	v_mul_f64 v[15:16], v[15:16], s[2:3]
	v_or_b32_e32 v9, v29, v9
	v_and_b32_e32 v18, 0xffff, v23
	v_lshrrev_b32_e32 v23, v17, v25
	v_cndmask_b32_e32 v9, v26, v9, vcc_lo
	v_lshl_or_b32 v6, v6, 16, v18
	v_lshlrev_b32_e32 v3, v17, v23
	v_add_co_u32 v17, vcc_lo, v19, s5
	v_and_b32_e32 v26, 7, v9
	v_add_co_ci_u32_e32 v18, vcc_lo, s4, v20, vcc_lo
	v_cmp_ne_u32_e64 s1, v3, v25
	v_lshrrev_b32_e32 v9, 2, v9
	v_cmp_lt_i32_e32 vcc_lo, 5, v26
	v_cmp_eq_u32_e64 s0, 3, v26
	v_add_nc_u32_e32 v25, 0xfffffc10, v30
	v_cndmask_b32_e64 v19, 0, 1, s1
	v_cvt_f64_f32_e32 v[3:4], v4
	global_store_dword v[17:18], v6, off
	s_or_b32 vcc_lo, s0, vcc_lo
	v_and_or_b32 v15, 0x1ff, v16, v15
	v_add_co_ci_u32_e32 v9, vcc_lo, 0, v9, vcc_lo
	v_or_b32_e32 v19, v23, v19
	v_lshl_or_b32 v20, v25, 12, v12
	v_cmp_gt_i32_e32 vcc_lo, 1, v25
	v_bfe_u32 v23, v16, 20, 11
	v_cndmask_b32_e32 v19, v20, v19, vcc_lo
	v_cmp_ne_u32_e32 vcc_lo, 0, v15
	v_lshrrev_b32_e32 v20, 8, v16
	v_lshrrev_b32_e32 v16, 16, v16
	v_and_b32_e32 v26, 7, v19
	v_cndmask_b32_e64 v15, 0, 1, vcc_lo
	v_cmp_ne_u32_e32 vcc_lo, 0, v21
	v_lshrrev_b32_e32 v19, 2, v19
	v_mul_f64 v[3:4], v[3:4], s[2:3]
	v_cmp_eq_u32_e64 s0, 3, v26
	v_and_or_b32 v27, 0xffe, v20, v15
	v_cndmask_b32_e64 v21, 0, 1, vcc_lo
	v_cmp_gt_i32_e32 vcc_lo, 31, v24
	v_sub_nc_u32_e32 v15, 0x3f1, v23
	v_mul_f16_sdwa v20, v89, v28 dst_sel:DWORD dst_unused:UNUSED_PAD src0_sel:WORD_1 src1_sel:DWORD
	v_or_b32_e32 v29, 0x1000, v27
	v_lshl_or_b32 v21, v21, 9, 0x7c00
	v_cndmask_b32_e32 v9, 0x7c00, v9, vcc_lo
	v_cmp_lt_i32_e32 vcc_lo, 5, v26
	v_med3_i32 v15, v15, 0, 13
	v_fmac_f16_e32 v20, v89, v14
	v_add_nc_u32_e32 v23, 0xfffffc10, v23
	s_or_b32 vcc_lo, s0, vcc_lo
	v_lshrrev_b32_e32 v26, v15, v29
	v_add_co_ci_u32_e32 v30, vcc_lo, 0, v19, vcc_lo
	v_cmp_eq_u32_e32 vcc_lo, 0x40f, v24
	v_cvt_f32_f16_e32 v19, v20
	v_lshlrev_b32_e32 v15, v15, v26
	v_and_or_b32 v3, 0x1ff, v4, v3
	v_lshrrev_b32_e32 v24, 8, v4
	v_cndmask_b32_e32 v9, v9, v21, vcc_lo
	v_cmp_ne_u32_e32 vcc_lo, 0, v12
	v_cvt_f64_f32_e32 v[19:20], v19
	v_and_or_b32 v9, 0x8000, v22, v9
	v_cndmask_b32_e64 v12, 0, 1, vcc_lo
	v_cmp_gt_i32_e32 vcc_lo, 31, v25
	v_and_b32_e32 v9, 0xffff, v9
	v_lshl_or_b32 v12, v12, 9, 0x7c00
	v_cndmask_b32_e32 v21, 0x7c00, v30, vcc_lo
	v_cmp_ne_u32_e32 vcc_lo, v15, v29
	v_bfe_u32 v29, v4, 20, 11
	v_lshrrev_b32_e32 v4, 16, v4
	v_cndmask_b32_e64 v15, 0, 1, vcc_lo
	v_cmp_ne_u32_e32 vcc_lo, 0, v3
	v_or_b32_e32 v15, v26, v15
	v_cndmask_b32_e64 v3, 0, 1, vcc_lo
	v_cmp_eq_u32_e32 vcc_lo, 0x40f, v25
	v_lshl_or_b32 v25, v23, 12, v27
	v_lshrrev_b32_e32 v26, 16, v13
	v_and_or_b32 v24, 0xffe, v24, v3
	v_cndmask_b32_e32 v21, v21, v12, vcc_lo
	v_sub_nc_u32_e32 v3, 0x3f1, v29
	v_cmp_gt_i32_e32 vcc_lo, 1, v23
	v_mul_f64 v[12:13], v[19:20], s[2:3]
	v_or_b32_e32 v22, 0x1000, v24
	v_med3_i32 v30, v3, 0, 13
	v_mul_f16_sdwa v3, v89, v14 dst_sel:DWORD dst_unused:UNUSED_PAD src0_sel:WORD_1 src1_sel:DWORD
	v_cndmask_b32_e32 v14, v25, v15, vcc_lo
	v_and_or_b32 v15, 0x8000, v26, v21
	v_lshrrev_b32_e32 v25, 16, v0
	v_lshrrev_b32_e32 v20, v30, v22
	v_fma_f16 v19, v89, v28, -v3
	v_and_b32_e32 v21, 7, v14
	v_lshl_or_b32 v3, v15, 16, v9
	v_lshlrev_b32_e32 v9, v30, v20
	v_cvt_f32_f16_e32 v6, v19
	v_cmp_lt_i32_e32 vcc_lo, 5, v21
	v_cmp_eq_u32_e64 s0, 3, v21
	v_lshrrev_b32_e32 v19, 2, v14
	v_cmp_ne_u32_e64 s1, v9, v22
	v_cvt_f64_f32_e32 v[14:15], v6
	v_add_nc_u32_e32 v9, 0xfffffc10, v29
	s_or_b32 vcc_lo, s0, vcc_lo
	v_and_or_b32 v12, 0x1ff, v13, v12
	v_add_co_ci_u32_e32 v19, vcc_lo, 0, v19, vcc_lo
	v_add_co_u32 v17, vcc_lo, v17, s5
	v_add_co_ci_u32_e32 v18, vcc_lo, s4, v18, vcc_lo
	v_cmp_ne_u32_e32 vcc_lo, 0, v27
	v_cndmask_b32_e64 v6, 0, 1, s1
	v_lshrrev_b32_e32 v22, 8, v13
	v_bfe_u32 v26, v13, 20, 11
	v_cmp_eq_u32_e64 s1, 0x40f, v23
	v_cndmask_b32_e64 v21, 0, 1, vcc_lo
	v_cmp_ne_u32_e32 vcc_lo, 0, v12
	v_or_b32_e32 v6, v20, v6
	v_lshl_or_b32 v20, v9, 12, v24
	v_lshrrev_b32_e32 v30, 16, v11
	v_lshl_or_b32 v21, v21, 9, 0x7c00
	v_cndmask_b32_e64 v12, 0, 1, vcc_lo
	v_cmp_gt_i32_e32 vcc_lo, 1, v9
	v_mul_f64 v[14:15], v[14:15], s[2:3]
	v_and_or_b32 v12, 0xffe, v22, v12
	v_cndmask_b32_e32 v6, v20, v6, vcc_lo
	v_mul_f16_sdwa v20, v88, v25 dst_sel:DWORD dst_unused:UNUSED_PAD src0_sel:WORD_1 src1_sel:DWORD
	v_cmp_gt_i32_e32 vcc_lo, 31, v23
	v_sub_nc_u32_e32 v22, 0x3f1, v26
	v_or_b32_e32 v28, 0x1000, v12
	v_and_b32_e32 v27, 7, v6
	v_fmac_f16_e32 v20, v88, v0
	v_cndmask_b32_e32 v19, 0x7c00, v19, vcc_lo
	v_lshrrev_b32_e32 v6, 2, v6
	v_med3_i32 v22, v22, 0, 13
	v_cmp_lt_i32_e32 vcc_lo, 5, v27
	v_cmp_eq_u32_e64 s0, 3, v27
	v_cvt_f32_f16_e32 v20, v20
	v_cndmask_b32_e64 v21, v19, v21, s1
	v_lshrrev_b32_e32 v27, v22, v28
	v_add_nc_u32_e32 v26, 0xfffffc10, v26
	s_or_b32 vcc_lo, s0, vcc_lo
	v_cvt_f64_f32_e32 v[19:20], v20
	v_add_co_ci_u32_e32 v6, vcc_lo, 0, v6, vcc_lo
	v_cmp_ne_u32_e32 vcc_lo, 0, v24
	v_lshlrev_b32_e32 v22, v22, v27
	v_and_or_b32 v14, 0x1ff, v15, v14
	v_mul_f16_sdwa v0, v88, v0 dst_sel:DWORD dst_unused:UNUSED_PAD src0_sel:WORD_1 src1_sel:DWORD
	v_lshrrev_b32_e32 v24, 8, v15
	v_cndmask_b32_e64 v23, 0, 1, vcc_lo
	v_cmp_gt_i32_e32 vcc_lo, 31, v9
	v_and_or_b32 v16, 0x8000, v16, v21
	v_fma_f16 v0, v88, v25, -v0
	v_lshl_or_b32 v23, v23, 9, 0x7c00
	v_cndmask_b32_e32 v6, 0x7c00, v6, vcc_lo
	v_cmp_ne_u32_e32 vcc_lo, v22, v28
	v_bfe_u32 v28, v15, 20, 11
	v_cvt_f32_f16_e32 v0, v0
	v_lshrrev_b32_e32 v15, 16, v15
	v_cndmask_b32_e64 v22, 0, 1, vcc_lo
	v_cmp_ne_u32_e32 vcc_lo, 0, v14
	v_mul_f64 v[19:20], v[19:20], s[2:3]
	v_or_b32_e32 v22, v27, v22
	v_cndmask_b32_e64 v14, 0, 1, vcc_lo
	v_cmp_eq_u32_e32 vcc_lo, 0x40f, v9
	v_lshl_or_b32 v27, v26, 12, v12
	v_and_or_b32 v14, 0xffe, v24, v14
	v_cndmask_b32_e32 v6, v6, v23, vcc_lo
	v_cmp_gt_i32_e32 vcc_lo, 1, v26
	v_sub_nc_u32_e32 v24, 0x3f1, v28
	v_or_b32_e32 v29, 0x1000, v14
	v_and_or_b32 v4, 0x8000, v4, v6
	v_cndmask_b32_e32 v9, v27, v22, vcc_lo
	v_med3_i32 v24, v24, 0, 13
	v_and_b32_e32 v6, 0xffff, v16
	v_cvt_f64_f32_e32 v[21:22], v0
	v_add_nc_u32_e32 v16, 0xfffffc10, v28
	v_and_b32_e32 v25, 7, v9
	v_lshrrev_b32_e32 v23, v24, v29
	v_lshl_or_b32 v4, v4, 16, v6
	v_lshrrev_b32_e32 v6, 2, v9
	v_and_or_b32 v9, 0x1ff, v20, v19
	v_cmp_lt_i32_e32 vcc_lo, 5, v25
	v_cmp_eq_u32_e64 s0, 3, v25
	v_lshlrev_b32_e32 v0, v24, v23
	v_lshrrev_b32_e32 v19, 8, v20
	v_bfe_u32 v25, v20, 20, 11
	s_or_b32 vcc_lo, s0, vcc_lo
	v_cmp_ne_u32_e64 s1, v0, v29
	v_add_co_ci_u32_e32 v6, vcc_lo, 0, v6, vcc_lo
	v_cmp_ne_u32_e32 vcc_lo, 0, v9
	v_cndmask_b32_e64 v0, 0, 1, s1
	v_cmp_eq_u32_e64 s1, 0x40f, v16
	v_cndmask_b32_e64 v9, 0, 1, vcc_lo
	v_cmp_ne_u32_e32 vcc_lo, 0, v12
	v_or_b32_e32 v0, v23, v0
	v_lshl_or_b32 v23, v16, 12, v14
	v_mul_f64 v[21:22], v[21:22], s[2:3]
	v_and_or_b32 v9, 0xffe, v19, v9
	v_cndmask_b32_e64 v12, 0, 1, vcc_lo
	v_cmp_gt_i32_e32 vcc_lo, 1, v16
	v_sub_nc_u32_e32 v19, 0x3f1, v25
	v_or_b32_e32 v27, 0x1000, v9
	v_lshl_or_b32 v12, v12, 9, 0x7c00
	v_cndmask_b32_e32 v0, v23, v0, vcc_lo
	v_cmp_gt_i32_e32 vcc_lo, 31, v26
	v_med3_i32 v19, v19, 0, 13
	v_mad_u64_u32 v[23:24], null, 0xffffd760, s8, v[17:18]
	v_and_b32_e32 v28, 7, v0
	v_cndmask_b32_e32 v6, 0x7c00, v6, vcc_lo
	v_cmp_eq_u32_e32 vcc_lo, 0x40f, v26
	v_lshrrev_b32_e32 v29, v19, v27
	v_lshrrev_b32_e32 v0, 2, v0
	v_cmp_eq_u32_e64 s0, 3, v28
	v_add_nc_u32_e32 v24, s6, v24
	v_cndmask_b32_e32 v6, v6, v12, vcc_lo
	v_cmp_lt_i32_e32 vcc_lo, 5, v28
	v_lshrrev_b32_e32 v12, 16, v13
	v_lshlrev_b32_e32 v19, v19, v29
	v_mul_f16_sdwa v13, v87, v30 dst_sel:DWORD dst_unused:UNUSED_PAD src0_sel:WORD_1 src1_sel:DWORD
	v_lshrrev_b32_e32 v26, 8, v22
	s_or_b32 vcc_lo, s0, vcc_lo
	v_and_or_b32 v6, 0x8000, v12, v6
	v_add_co_ci_u32_e32 v0, vcc_lo, 0, v0, vcc_lo
	v_and_or_b32 v12, 0x1ff, v22, v21
	v_cmp_ne_u32_e32 vcc_lo, v19, v27
	v_fmac_f16_e32 v13, v87, v11
	v_add_nc_u32_e32 v21, 0xfffffc10, v25
	v_bfe_u32 v27, v22, 20, 11
	v_mul_f16_sdwa v11, v87, v11 dst_sel:DWORD dst_unused:UNUSED_PAD src0_sel:WORD_1 src1_sel:DWORD
	v_cndmask_b32_e64 v19, 0, 1, vcc_lo
	v_cmp_ne_u32_e32 vcc_lo, 0, v12
	v_cvt_f32_f16_e32 v13, v13
	v_lshl_or_b32 v28, v21, 12, v9
	v_fma_f16 v11, v87, v30, -v11
	v_or_b32_e32 v19, v29, v19
	v_cndmask_b32_e64 v25, 0, 1, vcc_lo
	v_cvt_f64_f32_e32 v[12:13], v13
	v_cmp_gt_i32_e32 vcc_lo, 1, v21
	v_and_b32_e32 v6, 0xffff, v6
	global_store_dword v[17:18], v3, off
	global_store_dword v[23:24], v4, off
	v_and_or_b32 v25, 0xffe, v26, v25
	v_sub_nc_u32_e32 v26, 0x3f1, v27
	v_cndmask_b32_e32 v19, v28, v19, vcc_lo
	v_cmp_ne_u32_e32 vcc_lo, 0, v14
	v_or_b32_e32 v28, 0x1000, v25
	v_med3_i32 v26, v26, 0, 13
	v_and_b32_e32 v29, 7, v19
	v_cndmask_b32_e64 v14, 0, 1, vcc_lo
	v_cmp_gt_i32_e32 vcc_lo, 31, v16
	v_lshrrev_b32_e32 v19, 2, v19
	v_lshrrev_b32_e32 v30, v26, v28
	v_cmp_eq_u32_e64 s0, 3, v29
	v_lshl_or_b32 v14, v14, 9, 0x7c00
	v_cndmask_b32_e32 v0, 0x7c00, v0, vcc_lo
	v_cmp_lt_i32_e32 vcc_lo, 5, v29
	v_cvt_f32_f16_e32 v29, v11
	v_lshlrev_b32_e32 v16, v26, v30
	v_mul_f64 v[11:12], v[12:13], s[2:3]
	v_cndmask_b32_e64 v0, v0, v14, s1
	s_or_b32 vcc_lo, s0, vcc_lo
	v_cvt_f64_f32_e32 v[13:14], v29
	v_add_co_ci_u32_e32 v19, vcc_lo, 0, v19, vcc_lo
	v_cmp_ne_u32_e32 vcc_lo, v16, v28
	v_add_nc_u32_e32 v26, 0xfffffc10, v27
	v_and_or_b32 v0, 0x8000, v15, v0
	v_cndmask_b32_e64 v16, 0, 1, vcc_lo
	v_cmp_ne_u32_e32 vcc_lo, 0, v9
	v_lshl_or_b32 v27, v26, 12, v25
	v_lshl_or_b32 v6, v0, 16, v6
	v_lshrrev_b32_e32 v0, 16, v1
	v_or_b32_e32 v16, v30, v16
	v_cndmask_b32_e64 v9, 0, 1, vcc_lo
	v_cmp_gt_i32_e32 vcc_lo, 31, v21
	v_mul_f16_sdwa v17, v86, v0 dst_sel:DWORD dst_unused:UNUSED_PAD src0_sel:WORD_1 src1_sel:DWORD
	v_lshl_or_b32 v9, v9, 9, 0x7c00
	v_cndmask_b32_e32 v19, 0x7c00, v19, vcc_lo
	v_cmp_gt_i32_e32 vcc_lo, 1, v26
	v_and_or_b32 v11, 0x1ff, v12, v11
	v_mul_f64 v[13:14], v[13:14], s[2:3]
	v_lshrrev_b32_e32 v4, 8, v12
	v_fmac_f16_e32 v17, v86, v1
	v_cndmask_b32_e32 v15, v27, v16, vcc_lo
	v_cmp_eq_u32_e32 vcc_lo, 0x40f, v21
	v_cmp_ne_u32_e64 s0, 0, v11
	v_bfe_u32 v11, v12, 20, 11
	v_lshrrev_b32_e32 v16, 16, v20
	v_mul_f16_sdwa v1, v86, v1 dst_sel:DWORD dst_unused:UNUSED_PAD src0_sel:WORD_1 src1_sel:DWORD
	v_cndmask_b32_e32 v9, v19, v9, vcc_lo
	v_and_b32_e32 v19, 7, v15
	v_cndmask_b32_e64 v3, 0, 1, s0
	v_lshrrev_b32_e32 v15, 2, v15
	v_lshrrev_b32_e32 v12, 16, v12
	v_and_or_b32 v9, 0x8000, v16, v9
	v_cmp_lt_i32_e32 vcc_lo, 5, v19
	v_cmp_eq_u32_e64 s0, 3, v19
	v_and_or_b32 v18, 0xffe, v4, v3
	v_sub_nc_u32_e32 v3, 0x3f1, v11
	v_add_nc_u32_e32 v11, 0xfffffc10, v11
	v_and_b32_e32 v9, 0xffff, v9
	s_or_b32 vcc_lo, s0, vcc_lo
	v_or_b32_e32 v19, 0x1000, v18
	v_add_co_ci_u32_e32 v15, vcc_lo, 0, v15, vcc_lo
	v_cmp_ne_u32_e32 vcc_lo, 0, v25
	v_med3_i32 v20, v3, 0, 13
	v_cvt_f32_f16_e32 v3, v17
	v_and_or_b32 v13, 0x1ff, v14, v13
	v_lshrrev_b32_e32 v25, 8, v14
	v_cndmask_b32_e64 v17, 0, 1, vcc_lo
	v_cmp_gt_i32_e32 vcc_lo, 31, v26
	v_lshrrev_b32_e32 v21, v20, v19
	v_bfe_u32 v27, v14, 20, 11
	v_cvt_f64_f32_e32 v[3:4], v3
	v_lshl_or_b32 v17, v17, 9, 0x7c00
	v_cndmask_b32_e32 v15, 0x7c00, v15, vcc_lo
	v_cmp_ne_u32_e32 vcc_lo, 0, v13
	v_lshlrev_b32_e32 v20, v20, v21
	v_sub_nc_u32_e32 v16, 0x3f1, v27
	v_cndmask_b32_e64 v13, 0, 1, vcc_lo
	v_cmp_ne_u32_e32 vcc_lo, v20, v19
	v_med3_i32 v16, v16, 0, 13
	v_and_or_b32 v13, 0xffe, v25, v13
	v_cndmask_b32_e64 v19, 0, 1, vcc_lo
	v_cmp_eq_u32_e32 vcc_lo, 0x40f, v26
	v_or_b32_e32 v20, 0x1000, v13
	v_or_b32_e32 v19, v21, v19
	v_cndmask_b32_e32 v15, v15, v17, vcc_lo
	v_lshrrev_b32_e32 v17, 16, v22
	v_lshl_or_b32 v21, v11, 12, v18
	v_lshrrev_b32_e32 v22, v16, v20
	v_cmp_gt_i32_e32 vcc_lo, 1, v11
	v_mul_f64 v[3:4], v[3:4], s[2:3]
	v_and_or_b32 v17, 0x8000, v17, v15
	v_lshlrev_b32_e32 v15, v16, v22
	v_cndmask_b32_e32 v19, v21, v19, vcc_lo
	v_fma_f16 v16, v86, v0, -v1
	v_add_co_u32 v0, vcc_lo, v23, s5
	v_cmp_ne_u32_e64 s0, v15, v20
	v_and_b32_e32 v21, 7, v19
	v_add_co_ci_u32_e32 v1, vcc_lo, s4, v24, vcc_lo
	v_cvt_f32_f16_e32 v16, v16
	v_cndmask_b32_e64 v20, 0, 1, s0
	v_cmp_lt_i32_e32 vcc_lo, 5, v21
	v_cmp_eq_u32_e64 s0, 3, v21
	v_lshrrev_b32_e32 v19, 2, v19
	v_cvt_f64_f32_e32 v[15:16], v16
	v_add_nc_u32_e32 v23, 0xfffffc10, v27
	v_or_b32_e32 v20, v22, v20
	s_or_b32 vcc_lo, s0, vcc_lo
	v_lshl_or_b32 v9, v17, 16, v9
	v_add_co_ci_u32_e32 v19, vcc_lo, 0, v19, vcc_lo
	v_cmp_ne_u32_e32 vcc_lo, 0, v18
	v_lshl_or_b32 v21, v23, 12, v13
	v_and_or_b32 v3, 0x1ff, v4, v3
	v_bfe_u32 v22, v4, 20, 11
	global_store_dword v[0:1], v6, off
	v_cndmask_b32_e64 v18, 0, 1, vcc_lo
	v_cmp_gt_i32_e32 vcc_lo, 1, v23
	v_lshl_or_b32 v18, v18, 9, 0x7c00
	v_cndmask_b32_e32 v20, v21, v20, vcc_lo
	v_cmp_gt_i32_e32 vcc_lo, 31, v11
	v_lshrrev_b32_e32 v21, 8, v4
	v_lshrrev_b32_e32 v4, 16, v4
	v_mul_f64 v[15:16], v[15:16], s[2:3]
	v_cndmask_b32_e32 v17, 0x7c00, v19, vcc_lo
	v_cmp_ne_u32_e32 vcc_lo, 0, v3
	v_and_b32_e32 v19, 7, v20
	v_cndmask_b32_e64 v3, 0, 1, vcc_lo
	v_cmp_eq_u32_e32 vcc_lo, 0x40f, v11
	v_cmp_eq_u32_e64 s0, 3, v19
	v_and_or_b32 v3, 0xffe, v21, v3
	v_cndmask_b32_e32 v11, v17, v18, vcc_lo
	v_cmp_lt_i32_e32 vcc_lo, 5, v19
	v_lshrrev_b32_e32 v19, 2, v20
	v_lshrrev_b32_e32 v18, 16, v8
	v_sub_nc_u32_e32 v17, 0x3f1, v22
	v_or_b32_e32 v20, 0x1000, v3
	s_or_b32 vcc_lo, s0, vcc_lo
	v_and_or_b32 v25, 0x8000, v12, v11
	v_add_co_ci_u32_e32 v19, vcc_lo, 0, v19, vcc_lo
	v_cmp_ne_u32_e32 vcc_lo, 0, v13
	v_mul_f16_sdwa v21, v85, v18 dst_sel:DWORD dst_unused:UNUSED_PAD src0_sel:WORD_1 src1_sel:DWORD
	v_med3_i32 v17, v17, 0, 13
	v_and_or_b32 v15, 0x1ff, v16, v15
	v_cndmask_b32_e64 v13, 0, 1, vcc_lo
	v_cmp_gt_i32_e32 vcc_lo, 31, v23
	v_fmac_f16_e32 v21, v85, v8
	v_lshrrev_b32_e32 v24, v17, v20
	v_mul_f16_sdwa v8, v85, v8 dst_sel:DWORD dst_unused:UNUSED_PAD src0_sel:WORD_1 src1_sel:DWORD
	v_lshl_or_b32 v13, v13, 9, 0x7c00
	v_cndmask_b32_e32 v19, 0x7c00, v19, vcc_lo
	v_cmp_eq_u32_e32 vcc_lo, 0x40f, v23
	v_cvt_f32_f16_e32 v21, v21
	v_lshlrev_b32_e32 v17, v17, v24
	v_cndmask_b32_e32 v19, v19, v13, vcc_lo
	v_cmp_ne_u32_e32 vcc_lo, 0, v15
	v_cvt_f64_f32_e32 v[11:12], v21
	v_lshrrev_b32_e32 v15, 8, v16
	v_bfe_u32 v21, v16, 20, 11
	v_lshrrev_b32_e32 v16, 16, v16
	v_cndmask_b32_e64 v13, 0, 1, vcc_lo
	v_cmp_ne_u32_e32 vcc_lo, v17, v20
	v_add_nc_u32_e32 v20, 0xfffffc10, v22
	v_lshrrev_b32_e32 v22, 16, v14
	v_and_or_b32 v15, 0xffe, v15, v13
	v_sub_nc_u32_e32 v13, 0x3f1, v21
	v_cndmask_b32_e64 v17, 0, 1, vcc_lo
	v_lshl_or_b32 v23, v20, 12, v3
	v_and_or_b32 v19, 0x8000, v22, v19
	v_and_b32_e32 v22, 0xffff, v25
	v_med3_i32 v26, v13, 0, 13
	v_add_co_u32 v13, vcc_lo, v0, s5
	v_add_co_ci_u32_e32 v14, vcc_lo, s4, v1, vcc_lo
	v_or_b32_e32 v17, v24, v17
	v_cmp_gt_i32_e32 vcc_lo, 1, v20
	v_or_b32_e32 v24, 0x1000, v15
	v_fma_f16 v0, v85, v18, -v8
	v_mul_f64 v[11:12], v[11:12], s[2:3]
	global_store_dword v[13:14], v9, off
	v_cndmask_b32_e32 v17, v23, v17, vcc_lo
	v_lshrrev_b32_e32 v23, v26, v24
	v_cvt_f32_f16_e32 v0, v0
	v_lshl_or_b32 v6, v19, 16, v22
	v_and_b32_e32 v1, 7, v17
	v_lshlrev_b32_e32 v8, v26, v23
	v_lshrrev_b32_e32 v9, 2, v17
	v_add_nc_u32_e32 v17, 0xfffffc10, v21
	v_cmp_lt_i32_e32 vcc_lo, 5, v1
	v_cmp_eq_u32_e64 s0, 3, v1
	v_cmp_ne_u32_e64 s1, v8, v24
	v_cvt_f64_f32_e32 v[0:1], v0
	v_lshl_or_b32 v21, v17, 12, v15
	s_or_b32 vcc_lo, s0, vcc_lo
	v_cndmask_b32_e64 v8, 0, 1, s1
	v_add_co_ci_u32_e32 v18, vcc_lo, 0, v9, vcc_lo
	v_cmp_ne_u32_e32 vcc_lo, 0, v3
	v_and_or_b32 v11, 0x1ff, v12, v11
	v_or_b32_e32 v19, v23, v8
	v_cmp_eq_u32_e64 s1, 0x40f, v20
	v_cndmask_b32_e64 v3, 0, 1, vcc_lo
	v_add_co_u32 v8, vcc_lo, v13, s5
	v_add_co_ci_u32_e32 v9, vcc_lo, s4, v14, vcc_lo
	v_cmp_gt_i32_e32 vcc_lo, 1, v17
	v_lshl_or_b32 v3, v3, 9, 0x7c00
	global_store_dword v[8:9], v6, off
	v_cndmask_b32_e32 v13, v21, v19, vcc_lo
	v_cmp_gt_i32_e32 vcc_lo, 31, v20
	v_bfe_u32 v19, v12, 20, 11
	v_mul_f64 v[0:1], v[0:1], s[2:3]
	v_and_b32_e32 v21, 7, v13
	v_cndmask_b32_e32 v14, 0x7c00, v18, vcc_lo
	v_cmp_ne_u32_e32 vcc_lo, 0, v11
	v_lshrrev_b32_e32 v18, 8, v12
	v_sub_nc_u32_e32 v22, 0x3f1, v19
	v_cmp_eq_u32_e64 s0, 3, v21
	v_lshrrev_b32_e32 v13, 2, v13
	v_cndmask_b32_e64 v11, 0, 1, vcc_lo
	v_cmp_lt_i32_e32 vcc_lo, 5, v21
	v_med3_i32 v22, v22, 0, 13
	v_cndmask_b32_e64 v3, v14, v3, s1
	v_add_nc_u32_e32 v19, 0xfffffc10, v19
	v_and_or_b32 v11, 0xffe, v18, v11
	v_lshrrev_b32_e32 v18, 16, v2
	s_or_b32 vcc_lo, s0, vcc_lo
	v_add_co_ci_u32_e32 v13, vcc_lo, 0, v13, vcc_lo
	v_or_b32_e32 v21, 0x1000, v11
	v_mul_f16_sdwa v23, v84, v18 dst_sel:DWORD dst_unused:UNUSED_PAD src0_sel:WORD_1 src1_sel:DWORD
	v_cmp_ne_u32_e32 vcc_lo, 0, v15
	v_and_or_b32 v0, 0x1ff, v1, v0
	v_bfe_u32 v24, v1, 20, 11
	v_lshrrev_b32_e32 v20, v22, v21
	v_fmac_f16_e32 v23, v84, v2
	v_cndmask_b32_e64 v15, 0, 1, vcc_lo
	v_cmp_gt_i32_e32 vcc_lo, 31, v17
	v_mul_f16_sdwa v2, v84, v2 dst_sel:DWORD dst_unused:UNUSED_PAD src0_sel:WORD_1 src1_sel:DWORD
	v_lshlrev_b32_e32 v22, v22, v20
	v_cvt_f32_f16_e32 v14, v23
	v_lshl_or_b32 v15, v15, 9, 0x7c00
	v_cndmask_b32_e32 v23, 0x7c00, v13, vcc_lo
	v_fma_f16 v2, v84, v18, -v2
	v_cmp_ne_u32_e32 vcc_lo, v22, v21
	v_cvt_f64_f32_e32 v[13:14], v14
	v_lshrrev_b32_e32 v22, 8, v1
	v_add_nc_u32_e32 v18, 0xfffffc10, v24
	v_cvt_f32_f16_e32 v2, v2
	v_cndmask_b32_e64 v21, 0, 1, vcc_lo
	v_cmp_ne_u32_e32 vcc_lo, 0, v0
	v_lshrrev_b32_e32 v1, 16, v1
	v_or_b32_e32 v20, v20, v21
	v_cndmask_b32_e64 v0, 0, 1, vcc_lo
	v_cmp_eq_u32_e32 vcc_lo, 0x40f, v17
	v_lshl_or_b32 v21, v19, 12, v11
	v_and_or_b32 v0, 0xffe, v22, v0
	v_sub_nc_u32_e32 v22, 0x3f1, v24
	v_cndmask_b32_e32 v15, v23, v15, vcc_lo
	v_cmp_gt_i32_e32 vcc_lo, 1, v19
	v_cndmask_b32_e32 v17, v21, v20, vcc_lo
	v_or_b32_e32 v20, 0x1000, v0
	v_med3_i32 v21, v22, 0, 13
	v_and_or_b32 v22, 0x8000, v4, v3
	v_mul_f64 v[3:4], v[13:14], s[2:3]
	v_and_or_b32 v13, 0x8000, v16, v15
	v_and_b32_e32 v14, 7, v17
	v_lshrrev_b32_e32 v15, v21, v20
	v_and_b32_e32 v16, 0xffff, v22
	v_lshrrev_b32_e32 v17, 2, v17
	v_cmp_lt_i32_e32 vcc_lo, 5, v14
	v_lshlrev_b32_e32 v6, v21, v15
	v_cmp_eq_u32_e64 s0, 3, v14
	v_lshl_or_b32 v16, v13, 16, v16
	v_cvt_f64_f32_e32 v[13:14], v2
	v_lshrrev_b32_e32 v21, 16, v7
	v_cmp_ne_u32_e64 s1, v6, v20
	s_or_b32 vcc_lo, s0, vcc_lo
	v_add_co_ci_u32_e32 v2, vcc_lo, 0, v17, vcc_lo
	v_cndmask_b32_e64 v6, 0, 1, s1
	v_cmp_ne_u32_e32 vcc_lo, 0, v11
	v_mul_f16_sdwa v24, v83, v21 dst_sel:DWORD dst_unused:UNUSED_PAD src0_sel:WORD_1 src1_sel:DWORD
	v_and_or_b32 v3, 0x1ff, v4, v3
	v_or_b32_e32 v6, v15, v6
	v_lshl_or_b32 v15, v18, 12, v0
	v_cndmask_b32_e64 v11, 0, 1, vcc_lo
	v_cmp_gt_i32_e32 vcc_lo, 1, v18
	v_bfe_u32 v17, v4, 20, 11
	v_fmac_f16_e32 v24, v83, v7
	v_lshl_or_b32 v11, v11, 9, 0x7c00
	v_cndmask_b32_e32 v6, v15, v6, vcc_lo
	v_cmp_ne_u32_e32 vcc_lo, 0, v3
	v_lshrrev_b32_e32 v15, 8, v4
	v_sub_nc_u32_e32 v23, 0x3f1, v17
	v_add_nc_u32_e32 v17, 0xfffffc10, v17
	v_and_b32_e32 v20, 7, v6
	v_cndmask_b32_e64 v3, 0, 1, vcc_lo
	v_cmp_gt_i32_e32 vcc_lo, 31, v19
	v_lshrrev_b32_e32 v6, 2, v6
	v_lshrrev_b32_e32 v4, 16, v4
	v_cmp_eq_u32_e64 s0, 3, v20
	v_and_or_b32 v15, 0xffe, v15, v3
	v_cndmask_b32_e32 v22, 0x7c00, v2, vcc_lo
	v_cmp_lt_i32_e32 vcc_lo, 5, v20
	v_mul_f64 v[2:3], v[13:14], s[2:3]
	v_med3_i32 v13, v23, 0, 13
	v_or_b32_e32 v25, 0x1000, v15
	v_cvt_f32_f16_e32 v14, v24
	s_or_b32 vcc_lo, s0, vcc_lo
	v_add_co_ci_u32_e32 v6, vcc_lo, 0, v6, vcc_lo
	v_add_co_u32 v8, vcc_lo, v8, s5
	v_add_co_ci_u32_e32 v9, vcc_lo, s4, v9, vcc_lo
	v_lshrrev_b32_e32 v20, v13, v25
	v_cmp_ne_u32_e32 vcc_lo, 0, v0
	global_store_dword v[8:9], v16, off
	v_lshlrev_b32_e32 v23, v13, v20
	v_cvt_f64_f32_e32 v[13:14], v14
	v_cndmask_b32_e64 v0, 0, 1, vcc_lo
	v_cmp_eq_u32_e32 vcc_lo, 0x40f, v19
	v_and_or_b32 v2, 0x1ff, v3, v2
	v_lshl_or_b32 v0, v0, 9, 0x7c00
	v_cndmask_b32_e32 v19, v22, v11, vcc_lo
	v_cmp_gt_i32_e32 vcc_lo, 31, v18
	v_lshrrev_b32_e32 v22, 16, v12
	v_cndmask_b32_e32 v6, 0x7c00, v6, vcc_lo
	v_cmp_ne_u32_e32 vcc_lo, v23, v25
	v_cndmask_b32_e64 v11, 0, 1, vcc_lo
	v_cmp_eq_u32_e32 vcc_lo, 0x40f, v18
	v_lshrrev_b32_e32 v18, 8, v3
	v_cndmask_b32_e32 v0, v6, v0, vcc_lo
	v_cmp_ne_u32_e32 vcc_lo, 0, v2
	v_or_b32_e32 v6, v20, v11
	v_mul_f64 v[11:12], v[13:14], s[2:3]
	v_bfe_u32 v20, v3, 20, 11
	v_lshl_or_b32 v13, v17, 12, v15
	v_cndmask_b32_e64 v2, 0, 1, vcc_lo
	v_cmp_gt_i32_e32 vcc_lo, 1, v17
	v_and_or_b32 v14, 0x8000, v22, v19
	v_and_or_b32 v0, 0x8000, v1, v0
	v_lshrrev_b32_e32 v3, 16, v3
	v_and_or_b32 v18, 0xffe, v18, v2
	v_sub_nc_u32_e32 v2, 0x3f1, v20
	v_cndmask_b32_e32 v6, v13, v6, vcc_lo
	v_or_b32_e32 v13, 0x1000, v18
	v_med3_i32 v1, v2, 0, 13
	v_mul_f16_sdwa v2, v83, v7 dst_sel:DWORD dst_unused:UNUSED_PAD src0_sel:WORD_1 src1_sel:DWORD
	v_and_b32_e32 v7, 0xffff, v14
	v_and_b32_e32 v14, 7, v6
	v_lshrrev_b32_e32 v16, v1, v13
	v_fma_f16 v19, v83, v21, -v2
	v_lshl_or_b32 v2, v0, 16, v7
	v_and_or_b32 v11, 0x1ff, v12, v11
	v_add_co_u32 v0, s1, v8, s5
	v_cvt_f32_f16_e32 v7, v19
	v_cmp_lt_i32_e32 vcc_lo, 5, v14
	v_cmp_eq_u32_e64 s0, 3, v14
	v_lshlrev_b32_e32 v14, v1, v16
	v_add_co_ci_u32_e64 v1, s1, s4, v9, s1
	v_cmp_ne_u32_e64 s1, 0, v11
	v_lshrrev_b32_e32 v8, 2, v6
	v_cvt_f64_f32_e32 v[6:7], v7
	v_lshrrev_b32_e32 v11, 8, v12
	v_bfe_u32 v19, v12, 20, 11
	v_cndmask_b32_e64 v9, 0, 1, s1
	v_cmp_ne_u32_e64 s1, v14, v13
	v_add_nc_u32_e32 v14, 0xfffffc10, v20
	s_or_b32 vcc_lo, s0, vcc_lo
	v_lshrrev_b32_e32 v21, 16, v5
	v_add_co_ci_u32_e32 v8, vcc_lo, 0, v8, vcc_lo
	v_cndmask_b32_e64 v13, 0, 1, s1
	v_and_or_b32 v11, 0xffe, v11, v9
	v_sub_nc_u32_e32 v9, 0x3f1, v19
	v_cmp_gt_i32_e32 vcc_lo, 1, v14
	v_mul_f16_sdwa v22, v82, v21 dst_sel:DWORD dst_unused:UNUSED_PAD src0_sel:WORD_1 src1_sel:DWORD
	v_or_b32_e32 v13, v16, v13
	v_lshl_or_b32 v16, v14, 12, v18
	v_or_b32_e32 v20, 0x1000, v11
	v_med3_i32 v9, v9, 0, 13
	v_cmp_eq_u32_e64 s1, 0x40f, v17
	v_fmac_f16_e32 v22, v82, v5
	v_cndmask_b32_e32 v13, v16, v13, vcc_lo
	v_cmp_ne_u32_e32 vcc_lo, 0, v15
	v_mul_f64 v[6:7], v[6:7], s[2:3]
	v_lshrrev_b32_e32 v16, v9, v20
	v_add_nc_u32_e32 v19, 0xfffffc10, v19
	v_and_b32_e32 v23, 7, v13
	v_cndmask_b32_e64 v15, 0, 1, vcc_lo
	v_cmp_gt_i32_e32 vcc_lo, 31, v17
	v_lshlrev_b32_e32 v9, v9, v16
	v_lshrrev_b32_e32 v13, 2, v13
	v_cmp_eq_u32_e64 s0, 3, v23
	v_lshl_or_b32 v15, v15, 9, 0x7c00
	v_cndmask_b32_e32 v8, 0x7c00, v8, vcc_lo
	v_cmp_lt_i32_e32 vcc_lo, 5, v23
	v_mul_f16_sdwa v5, v82, v5 dst_sel:DWORD dst_unused:UNUSED_PAD src0_sel:WORD_1 src1_sel:DWORD
	v_cndmask_b32_e64 v15, v8, v15, s1
	v_cmp_ne_u32_e64 s1, v9, v20
	v_cvt_f32_f16_e32 v8, v22
	s_or_b32 vcc_lo, s0, vcc_lo
	v_fma_f16 v5, v82, v21, -v5
	v_add_co_ci_u32_e32 v13, vcc_lo, 0, v13, vcc_lo
	v_cndmask_b32_e64 v17, 0, 1, s1
	v_cmp_ne_u32_e32 vcc_lo, 0, v18
	v_cvt_f64_f32_e32 v[8:9], v8
	v_and_or_b32 v6, 0x1ff, v7, v6
	v_bfe_u32 v20, v7, 20, 11
	v_or_b32_e32 v16, v16, v17
	v_lshl_or_b32 v17, v19, 12, v11
	v_cndmask_b32_e64 v18, 0, 1, vcc_lo
	v_cmp_gt_i32_e32 vcc_lo, 1, v19
	v_and_or_b32 v4, 0x8000, v4, v15
	v_lshl_or_b32 v18, v18, 9, 0x7c00
	v_cndmask_b32_e32 v16, v17, v16, vcc_lo
	v_cmp_ne_u32_e32 vcc_lo, 0, v6
	v_lshrrev_b32_e32 v17, 8, v7
	v_and_b32_e32 v4, 0xffff, v4
	v_and_b32_e32 v22, 7, v16
	v_cndmask_b32_e64 v6, 0, 1, vcc_lo
	v_cmp_gt_i32_e32 vcc_lo, 31, v14
	v_cmp_eq_u32_e64 s0, 3, v22
	v_and_or_b32 v17, 0xffe, v17, v6
	v_cndmask_b32_e32 v13, 0x7c00, v13, vcc_lo
	v_cmp_eq_u32_e32 vcc_lo, 0x40f, v14
	v_sub_nc_u32_e32 v6, 0x3f1, v20
	v_mul_f64 v[8:9], v[8:9], s[2:3]
	v_or_b32_e32 v14, 0x1000, v17
	v_cndmask_b32_e32 v13, v13, v18, vcc_lo
	v_med3_i32 v6, v6, 0, 13
	v_cmp_lt_i32_e32 vcc_lo, 5, v22
	v_and_or_b32 v3, 0x8000, v3, v13
	v_lshrrev_b32_e32 v13, 2, v16
	v_lshrrev_b32_e32 v15, v6, v14
	s_or_b32 vcc_lo, s0, vcc_lo
	v_lshl_or_b32 v16, v3, 16, v4
	v_add_co_ci_u32_e32 v13, vcc_lo, 0, v13, vcc_lo
	v_lshlrev_b32_e32 v6, v6, v15
	v_cmp_ne_u32_e32 vcc_lo, 0, v11
	v_cvt_f32_f16_e32 v3, v5
	v_cndmask_b32_e64 v11, 0, 1, vcc_lo
	v_cmp_ne_u32_e32 vcc_lo, v6, v14
	v_and_or_b32 v8, 0x1ff, v9, v8
	v_add_nc_u32_e32 v14, 0xfffffc10, v20
	v_lshrrev_b32_e32 v18, 8, v9
	v_bfe_u32 v20, v9, 20, 11
	v_cndmask_b32_e64 v5, 0, 1, vcc_lo
	v_cmp_gt_i32_e32 vcc_lo, 31, v19
	v_cvt_f64_f32_e32 v[3:4], v3
	v_lshrrev_b32_e32 v9, 16, v9
	v_or_b32_e32 v5, v15, v5
	v_cndmask_b32_e32 v6, 0x7c00, v13, vcc_lo
	v_cmp_ne_u32_e32 vcc_lo, 0, v8
	v_lshrrev_b32_e32 v13, 16, v10
	v_lshl_or_b32 v15, v14, 12, v17
	v_cndmask_b32_e64 v8, 0, 1, vcc_lo
	v_cmp_gt_i32_e32 vcc_lo, 1, v14
	v_mul_f16_sdwa v21, v81, v13 dst_sel:DWORD dst_unused:UNUSED_PAD src0_sel:WORD_1 src1_sel:DWORD
	v_and_or_b32 v18, 0xffe, v18, v8
	v_sub_nc_u32_e32 v8, 0x3f1, v20
	v_cndmask_b32_e32 v15, v15, v5, vcc_lo
	v_fmac_f16_e32 v21, v81, v10
	v_lshl_or_b32 v5, v11, 9, 0x7c00
	v_or_b32_e32 v11, 0x1000, v18
	v_med3_i32 v8, v8, 0, 13
	v_and_b32_e32 v22, 7, v15
	v_cmp_eq_u32_e32 vcc_lo, 0x40f, v19
	v_cvt_f32_f16_e32 v21, v21
	v_mul_f64 v[3:4], v[3:4], s[2:3]
	v_lshrrev_b32_e32 v23, v8, v11
	v_cmp_eq_u32_e64 s0, 3, v22
	v_cndmask_b32_e32 v19, v6, v5, vcc_lo
	v_cmp_lt_i32_e32 vcc_lo, 5, v22
	v_cvt_f64_f32_e32 v[5:6], v21
	v_lshrrev_b32_e32 v21, 16, v12
	v_lshrrev_b32_e32 v12, 2, v15
	v_lshlrev_b32_e32 v8, v8, v23
	s_or_b32 vcc_lo, s0, vcc_lo
	v_mul_f16_sdwa v10, v81, v10 dst_sel:DWORD dst_unused:UNUSED_PAD src0_sel:WORD_1 src1_sel:DWORD
	v_add_nc_u32_e32 v15, 0xfffffc10, v20
	v_add_co_ci_u32_e32 v12, vcc_lo, 0, v12, vcc_lo
	v_cmp_ne_u32_e32 vcc_lo, v8, v11
	v_fma_f16 v10, v81, v13, -v10
	v_and_or_b32 v19, 0x8000, v21, v19
	v_cndmask_b32_e64 v8, 0, 1, vcc_lo
	v_cmp_ne_u32_e32 vcc_lo, 0, v17
	v_cvt_f32_f16_e32 v10, v10
	v_lshl_or_b32 v17, v15, 12, v18
	v_and_or_b32 v3, 0x1ff, v4, v3
	v_or_b32_e32 v8, v23, v8
	v_cndmask_b32_e64 v13, 0, 1, vcc_lo
	v_cmp_gt_i32_e32 vcc_lo, 31, v14
	v_cvt_f64_f32_e32 v[10:11], v10
	v_mul_f64 v[5:6], v[5:6], s[2:3]
	v_and_b32_e32 v19, 0xffff, v19
	v_lshl_or_b32 v22, v13, 9, 0x7c00
	v_cndmask_b32_e32 v20, 0x7c00, v12, vcc_lo
	v_add_co_u32 v12, vcc_lo, v0, s5
	v_add_co_ci_u32_e32 v13, vcc_lo, s4, v1, vcc_lo
	v_cmp_gt_i32_e32 vcc_lo, 1, v15
	v_cndmask_b32_e32 v17, v17, v8, vcc_lo
	v_cmp_eq_u32_e32 vcc_lo, 0x40f, v14
	v_lshrrev_b32_e32 v8, 8, v4
	v_and_b32_e32 v23, 7, v17
	v_cndmask_b32_e32 v14, v20, v22, vcc_lo
	v_cmp_ne_u32_e32 vcc_lo, 0, v3
	v_bfe_u32 v20, v4, 20, 11
	v_lshrrev_b32_e32 v22, 16, v7
	v_cmp_eq_u32_e64 s0, 3, v23
	v_lshrrev_b32_e32 v17, 2, v17
	v_cndmask_b32_e64 v3, 0, 1, vcc_lo
	v_sub_nc_u32_e32 v21, 0x3f1, v20
	v_cmp_lt_i32_e32 vcc_lo, 5, v23
	v_and_or_b32 v5, 0x1ff, v6, v5
	v_bfe_u32 v23, v6, 20, 11
	v_and_or_b32 v3, 0xffe, v8, v3
	v_mul_f64 v[7:8], v[10:11], s[2:3]
	v_and_or_b32 v10, 0x8000, v22, v14
	v_med3_i32 v14, v21, 0, 13
	s_or_b32 vcc_lo, s0, vcc_lo
	v_or_b32_e32 v11, 0x1000, v3
	v_add_co_ci_u32_e32 v17, vcc_lo, 0, v17, vcc_lo
	v_cmp_ne_u32_e32 vcc_lo, 0, v5
	v_lshrrev_b32_e32 v22, 8, v6
	v_lshrrev_b32_e32 v21, v14, v11
	;; [unrolled: 1-line block ×4, first 2 shown]
	v_cndmask_b32_e64 v5, 0, 1, vcc_lo
	v_cmp_ne_u32_e32 vcc_lo, 0, v18
	v_lshlrev_b32_e32 v14, v14, v21
	v_lshl_or_b32 v10, v10, 16, v19
	v_and_or_b32 v5, 0xffe, v22, v5
	v_cndmask_b32_e64 v18, 0, 1, vcc_lo
	v_cmp_ne_u32_e32 vcc_lo, v14, v11
	v_sub_nc_u32_e32 v22, 0x3f1, v23
	v_add_nc_u32_e32 v14, 0xfffffc10, v20
	v_and_or_b32 v7, 0x1ff, v8, v7
	v_or_b32_e32 v20, 0x1000, v5
	v_cndmask_b32_e64 v11, 0, 1, vcc_lo
	v_cmp_gt_i32_e32 vcc_lo, 31, v15
	v_med3_i32 v22, v22, 0, 13
	v_lshrrev_b32_e32 v24, 8, v8
	v_bfe_u32 v25, v8, 20, 11
	v_or_b32_e32 v11, v21, v11
	v_cndmask_b32_e32 v17, 0x7c00, v17, vcc_lo
	v_cmp_ne_u32_e32 vcc_lo, 0, v7
	v_lshl_or_b32 v21, v14, 12, v3
	v_lshrrev_b32_e32 v26, v22, v20
	v_lshl_or_b32 v18, v18, 9, 0x7c00
	v_cndmask_b32_e64 v7, 0, 1, vcc_lo
	v_cmp_gt_i32_e32 vcc_lo, 1, v14
	v_and_or_b32 v7, 0xffe, v24, v7
	v_sub_nc_u32_e32 v24, 0x3f1, v25
	v_cndmask_b32_e32 v11, v21, v11, vcc_lo
	v_lshlrev_b32_e32 v21, v22, v26
	v_cmp_eq_u32_e32 vcc_lo, 0x40f, v15
	v_or_b32_e32 v22, 0x1000, v7
	v_med3_i32 v24, v24, 0, 13
	v_and_b32_e32 v27, 7, v11
	v_lshrrev_b32_e32 v11, 2, v11
	v_cndmask_b32_e32 v15, v17, v18, vcc_lo
	v_cmp_ne_u32_e32 vcc_lo, v21, v20
	v_add_nc_u32_e32 v18, 0xfffffc10, v23
	v_lshrrev_b32_e32 v20, v24, v22
	v_cmp_eq_u32_e64 s0, 3, v27
	v_and_or_b32 v9, 0x8000, v9, v15
	v_cndmask_b32_e64 v17, 0, 1, vcc_lo
	v_lshl_or_b32 v21, v18, 12, v5
	v_lshlrev_b32_e32 v23, v24, v20
	v_cmp_gt_i32_e64 s1, 1, v18
	v_cmp_lt_i32_e32 vcc_lo, 5, v27
	v_or_b32_e32 v17, v26, v17
	v_and_b32_e32 v9, 0xffff, v9
	s_or_b32 vcc_lo, s0, vcc_lo
	v_cndmask_b32_e64 v17, v21, v17, s1
	v_cmp_ne_u32_e64 s1, v23, v22
	v_add_nc_u32_e32 v22, 0xfffffc10, v25
	v_add_co_ci_u32_e32 v11, vcc_lo, 0, v11, vcc_lo
	v_and_b32_e32 v23, 7, v17
	v_cndmask_b32_e64 v21, 0, 1, s1
	v_cmp_ne_u32_e32 vcc_lo, 0, v3
	v_cmp_gt_i32_e64 s0, 1, v22
	v_lshrrev_b32_e32 v17, 2, v17
	v_cmp_gt_i32_e64 s1, 31, v14
	v_or_b32_e32 v20, v20, v21
	v_lshl_or_b32 v21, v22, 12, v7
	v_cndmask_b32_e64 v3, 0, 1, vcc_lo
	v_cmp_lt_i32_e32 vcc_lo, 5, v23
	v_cndmask_b32_e64 v11, 0x7c00, v11, s1
	v_cmp_eq_u32_e64 s1, 0x40f, v14
	v_cndmask_b32_e64 v15, v21, v20, s0
	v_cmp_eq_u32_e64 s0, 3, v23
	v_lshl_or_b32 v3, v3, 9, 0x7c00
	v_and_b32_e32 v20, 7, v15
	s_or_b32 vcc_lo, s0, vcc_lo
	v_cndmask_b32_e64 v3, v11, v3, s1
	v_add_co_ci_u32_e32 v17, vcc_lo, 0, v17, vcc_lo
	v_cmp_ne_u32_e32 vcc_lo, 0, v5
	v_cmp_eq_u32_e64 s0, 3, v20
	v_lshrrev_b32_e32 v11, 2, v15
	v_cmp_gt_i32_e64 s1, 31, v18
	v_cndmask_b32_e64 v5, 0, 1, vcc_lo
	v_cmp_lt_i32_e32 vcc_lo, 5, v20
	v_cndmask_b32_e64 v14, 0x7c00, v17, s1
	v_lshl_or_b32 v5, v5, 9, 0x7c00
	s_or_b32 vcc_lo, s0, vcc_lo
	v_add_co_ci_u32_e32 v11, vcc_lo, 0, v11, vcc_lo
	v_cmp_ne_u32_e32 vcc_lo, 0, v7
	v_cndmask_b32_e64 v7, 0, 1, vcc_lo
	v_cmp_eq_u32_e32 vcc_lo, 0x40f, v18
	v_lshl_or_b32 v7, v7, 9, 0x7c00
	v_cndmask_b32_e32 v5, v14, v5, vcc_lo
	v_cmp_gt_i32_e32 vcc_lo, 31, v22
	v_and_or_b32 v14, 0x8000, v4, v3
	v_and_or_b32 v5, 0x8000, v6, v5
	v_cndmask_b32_e32 v11, 0x7c00, v11, vcc_lo
	v_cmp_eq_u32_e32 vcc_lo, 0x40f, v22
	v_lshl_or_b32 v9, v14, 16, v9
	v_cndmask_b32_e32 v6, v11, v7, vcc_lo
	v_lshrrev_b32_e32 v7, 16, v8
	v_add_co_u32 v3, vcc_lo, v12, s5
	v_add_co_ci_u32_e32 v4, vcc_lo, s4, v13, vcc_lo
	v_and_or_b32 v7, 0x8000, v7, v6
	v_and_b32_e32 v8, 0xffff, v5
	v_add_co_u32 v5, vcc_lo, v3, s5
	v_add_co_ci_u32_e32 v6, vcc_lo, s4, v4, vcc_lo
	v_lshl_or_b32 v11, v7, 16, v8
	v_add_co_u32 v7, vcc_lo, v5, s5
	v_add_co_ci_u32_e32 v8, vcc_lo, s4, v6, vcc_lo
	global_store_dword v[0:1], v2, off
	global_store_dword v[12:13], v16, off
	;; [unrolled: 1-line block ×5, first 2 shown]
.LBB0_2:
	s_endpgm
	.section	.rodata,"a",@progbits
	.p2align	6, 0x0
	.amdhsa_kernel bluestein_single_back_len3000_dim1_half_op_CI_CI
		.amdhsa_group_segment_fixed_size 12000
		.amdhsa_private_segment_fixed_size 0
		.amdhsa_kernarg_size 104
		.amdhsa_user_sgpr_count 6
		.amdhsa_user_sgpr_private_segment_buffer 1
		.amdhsa_user_sgpr_dispatch_ptr 0
		.amdhsa_user_sgpr_queue_ptr 0
		.amdhsa_user_sgpr_kernarg_segment_ptr 1
		.amdhsa_user_sgpr_dispatch_id 0
		.amdhsa_user_sgpr_flat_scratch_init 0
		.amdhsa_user_sgpr_private_segment_size 0
		.amdhsa_wavefront_size32 1
		.amdhsa_uses_dynamic_stack 0
		.amdhsa_system_sgpr_private_segment_wavefront_offset 0
		.amdhsa_system_sgpr_workgroup_id_x 1
		.amdhsa_system_sgpr_workgroup_id_y 0
		.amdhsa_system_sgpr_workgroup_id_z 0
		.amdhsa_system_sgpr_workgroup_info 0
		.amdhsa_system_vgpr_workitem_id 0
		.amdhsa_next_free_vgpr 253
		.amdhsa_next_free_sgpr 20
		.amdhsa_reserve_vcc 1
		.amdhsa_reserve_flat_scratch 0
		.amdhsa_float_round_mode_32 0
		.amdhsa_float_round_mode_16_64 0
		.amdhsa_float_denorm_mode_32 3
		.amdhsa_float_denorm_mode_16_64 3
		.amdhsa_dx10_clamp 1
		.amdhsa_ieee_mode 1
		.amdhsa_fp16_overflow 0
		.amdhsa_workgroup_processor_mode 1
		.amdhsa_memory_ordered 1
		.amdhsa_forward_progress 0
		.amdhsa_shared_vgpr_count 0
		.amdhsa_exception_fp_ieee_invalid_op 0
		.amdhsa_exception_fp_denorm_src 0
		.amdhsa_exception_fp_ieee_div_zero 0
		.amdhsa_exception_fp_ieee_overflow 0
		.amdhsa_exception_fp_ieee_underflow 0
		.amdhsa_exception_fp_ieee_inexact 0
		.amdhsa_exception_int_div_zero 0
	.end_amdhsa_kernel
	.text
.Lfunc_end0:
	.size	bluestein_single_back_len3000_dim1_half_op_CI_CI, .Lfunc_end0-bluestein_single_back_len3000_dim1_half_op_CI_CI
                                        ; -- End function
	.section	.AMDGPU.csdata,"",@progbits
; Kernel info:
; codeLenInByte = 49456
; NumSgprs: 22
; NumVgprs: 253
; ScratchSize: 0
; MemoryBound: 0
; FloatMode: 240
; IeeeMode: 1
; LDSByteSize: 12000 bytes/workgroup (compile time only)
; SGPRBlocks: 2
; VGPRBlocks: 31
; NumSGPRsForWavesPerEU: 22
; NumVGPRsForWavesPerEU: 253
; Occupancy: 4
; WaveLimiterHint : 1
; COMPUTE_PGM_RSRC2:SCRATCH_EN: 0
; COMPUTE_PGM_RSRC2:USER_SGPR: 6
; COMPUTE_PGM_RSRC2:TRAP_HANDLER: 0
; COMPUTE_PGM_RSRC2:TGID_X_EN: 1
; COMPUTE_PGM_RSRC2:TGID_Y_EN: 0
; COMPUTE_PGM_RSRC2:TGID_Z_EN: 0
; COMPUTE_PGM_RSRC2:TIDIG_COMP_CNT: 0
	.text
	.p2alignl 6, 3214868480
	.fill 48, 4, 3214868480
	.type	__hip_cuid_100924648b8ac994,@object ; @__hip_cuid_100924648b8ac994
	.section	.bss,"aw",@nobits
	.globl	__hip_cuid_100924648b8ac994
__hip_cuid_100924648b8ac994:
	.byte	0                               ; 0x0
	.size	__hip_cuid_100924648b8ac994, 1

	.ident	"AMD clang version 19.0.0git (https://github.com/RadeonOpenCompute/llvm-project roc-6.4.0 25133 c7fe45cf4b819c5991fe208aaa96edf142730f1d)"
	.section	".note.GNU-stack","",@progbits
	.addrsig
	.addrsig_sym __hip_cuid_100924648b8ac994
	.amdgpu_metadata
---
amdhsa.kernels:
  - .args:
      - .actual_access:  read_only
        .address_space:  global
        .offset:         0
        .size:           8
        .value_kind:     global_buffer
      - .actual_access:  read_only
        .address_space:  global
        .offset:         8
        .size:           8
        .value_kind:     global_buffer
      - .actual_access:  read_only
        .address_space:  global
        .offset:         16
        .size:           8
        .value_kind:     global_buffer
      - .actual_access:  read_only
        .address_space:  global
        .offset:         24
        .size:           8
        .value_kind:     global_buffer
      - .actual_access:  read_only
        .address_space:  global
        .offset:         32
        .size:           8
        .value_kind:     global_buffer
      - .offset:         40
        .size:           8
        .value_kind:     by_value
      - .address_space:  global
        .offset:         48
        .size:           8
        .value_kind:     global_buffer
      - .address_space:  global
        .offset:         56
        .size:           8
        .value_kind:     global_buffer
      - .address_space:  global
        .offset:         64
        .size:           8
        .value_kind:     global_buffer
      - .address_space:  global
        .offset:         72
        .size:           8
        .value_kind:     global_buffer
      - .offset:         80
        .size:           4
        .value_kind:     by_value
      - .address_space:  global
        .offset:         88
        .size:           8
        .value_kind:     global_buffer
      - .address_space:  global
        .offset:         96
        .size:           8
        .value_kind:     global_buffer
    .group_segment_fixed_size: 12000
    .kernarg_segment_align: 8
    .kernarg_segment_size: 104
    .language:       OpenCL C
    .language_version:
      - 2
      - 0
    .max_flat_workgroup_size: 100
    .name:           bluestein_single_back_len3000_dim1_half_op_CI_CI
    .private_segment_fixed_size: 0
    .sgpr_count:     22
    .sgpr_spill_count: 0
    .symbol:         bluestein_single_back_len3000_dim1_half_op_CI_CI.kd
    .uniform_work_group_size: 1
    .uses_dynamic_stack: false
    .vgpr_count:     253
    .vgpr_spill_count: 0
    .wavefront_size: 32
    .workgroup_processor_mode: 1
amdhsa.target:   amdgcn-amd-amdhsa--gfx1030
amdhsa.version:
  - 1
  - 2
...

	.end_amdgpu_metadata
